;; amdgpu-corpus repo=ROCm/rocFFT kind=compiled arch=gfx1030 opt=O3
	.text
	.amdgcn_target "amdgcn-amd-amdhsa--gfx1030"
	.amdhsa_code_object_version 6
	.protected	bluestein_single_back_len1980_dim1_sp_op_CI_CI ; -- Begin function bluestein_single_back_len1980_dim1_sp_op_CI_CI
	.globl	bluestein_single_back_len1980_dim1_sp_op_CI_CI
	.p2align	8
	.type	bluestein_single_back_len1980_dim1_sp_op_CI_CI,@function
bluestein_single_back_len1980_dim1_sp_op_CI_CI: ; @bluestein_single_back_len1980_dim1_sp_op_CI_CI
; %bb.0:
	s_load_dwordx4 s[0:3], s[4:5], 0x28
	v_mul_u32_u24_e32 v1, 0x14b, v0
	v_mov_b32_e32 v61, 0
	v_lshrrev_b32_e32 v1, 16, v1
	v_add_nc_u32_e32 v60, s6, v1
	s_waitcnt lgkmcnt(0)
	v_cmp_gt_u64_e32 vcc_lo, s[0:1], v[60:61]
	s_and_saveexec_b32 s0, vcc_lo
	s_cbranch_execz .LBB0_31
; %bb.1:
	s_clause 0x1
	s_load_dwordx2 s[14:15], s[4:5], 0x0
	s_load_dwordx2 s[12:13], s[4:5], 0x38
	v_mul_lo_u16 v1, 0xc6, v1
	v_sub_nc_u16 v0, v0, v1
	v_and_b32_e32 v88, 0xffff, v0
	v_cmp_gt_u16_e32 vcc_lo, 0xb4, v0
	v_lshlrev_b32_e32 v87, 3, v88
	s_and_saveexec_b32 s1, vcc_lo
	s_cbranch_execz .LBB0_3
; %bb.2:
	s_load_dwordx2 s[6:7], s[4:5], 0x18
	s_waitcnt lgkmcnt(0)
	v_add_co_u32 v23, s0, s14, v87
	v_add_co_ci_u32_e64 v24, null, s15, 0, s0
	v_add_nc_u32_e32 v46, 0xa00, v87
	v_add_co_u32 v4, s0, 0x800, v23
	v_add_co_ci_u32_e64 v5, s0, 0, v24, s0
	v_add_co_u32 v6, s0, 0x1000, v23
	v_add_co_ci_u32_e64 v7, s0, 0, v24, s0
	;; [unrolled: 2-line block ×3, first 2 shown]
	v_add_co_u32 v14, s0, 0x2000, v23
	s_load_dwordx4 s[8:11], s[6:7], 0x0
	v_add_co_ci_u32_e64 v15, s0, 0, v24, s0
	v_add_co_u32 v16, s0, 0x2800, v23
	v_add_co_ci_u32_e64 v17, s0, 0, v24, s0
	s_clause 0x1
	global_load_dwordx2 v[0:1], v87, s[14:15]
	global_load_dwordx2 v[2:3], v87, s[14:15] offset:1440
	v_add_nc_u32_e32 v47, 0x1600, v87
	v_add_nc_u32_e32 v48, 0x2000, v87
	;; [unrolled: 1-line block ×3, first 2 shown]
	s_waitcnt lgkmcnt(0)
	v_mad_u64_u32 v[8:9], null, s10, v60, 0
	v_mad_u64_u32 v[12:13], null, s8, v88, 0
	s_mul_i32 s6, s9, 0x5a0
	s_mul_hi_u32 s7, s8, 0x5a0
	s_add_i32 s7, s7, s6
	v_mad_u64_u32 v[18:19], null, s11, v60, v[9:10]
	v_mad_u64_u32 v[21:22], null, s9, v88, v[13:14]
	v_add_co_u32 v19, s0, 0x3000, v23
	v_add_co_ci_u32_e64 v20, s0, 0, v24, s0
	v_mov_b32_e32 v9, v18
	v_add_co_u32 v22, s0, 0x3800, v23
	v_mov_b32_e32 v13, v21
	v_add_co_ci_u32_e64 v23, s0, 0, v24, s0
	v_lshlrev_b64 v[8:9], 3, v[8:9]
	s_clause 0x2
	global_load_dwordx2 v[4:5], v[4:5], off offset:832
	global_load_dwordx2 v[24:25], v[6:7], off offset:224
	;; [unrolled: 1-line block ×3, first 2 shown]
	v_lshlrev_b64 v[12:13], 3, v[12:13]
	s_clause 0x3
	global_load_dwordx2 v[10:11], v[10:11], off offset:1056
	global_load_dwordx2 v[26:27], v[14:15], off offset:448
	;; [unrolled: 1-line block ×4, first 2 shown]
	v_add_co_u32 v8, s0, s2, v8
	v_add_co_ci_u32_e64 v9, s0, s3, v9, s0
	s_mul_i32 s2, s8, 0x5a0
	v_add_co_u32 v8, s0, v8, v12
	v_add_co_ci_u32_e64 v9, s0, v9, v13, s0
	v_add_co_u32 v12, s0, v8, s2
	v_add_co_ci_u32_e64 v13, s0, s7, v9, s0
	;; [unrolled: 2-line block ×4, first 2 shown]
	s_clause 0x2
	global_load_dwordx2 v[8:9], v[8:9], off
	global_load_dwordx2 v[12:13], v[12:13], off
	;; [unrolled: 1-line block ×3, first 2 shown]
	v_add_co_u32 v32, s0, v30, s2
	v_add_co_ci_u32_e64 v33, s0, s7, v31, s0
	global_load_dwordx2 v[30:31], v[30:31], off
	v_add_co_u32 v34, s0, v32, s2
	v_add_co_ci_u32_e64 v35, s0, s7, v33, s0
	global_load_dwordx2 v[32:33], v[32:33], off
	;; [unrolled: 3-line block ×6, first 2 shown]
	v_add_co_u32 v44, s0, v42, s2
	v_add_co_ci_u32_e64 v45, s0, s7, v43, s0
	global_load_dwordx2 v[18:19], v[19:20], off offset:672
	global_load_dwordx2 v[20:21], v[42:43], off
	global_load_dwordx2 v[22:23], v[22:23], off offset:64
	global_load_dwordx2 v[42:43], v[44:45], off
	s_waitcnt vmcnt(12)
	v_mul_f32_e32 v44, v9, v1
	v_mul_f32_e32 v45, v8, v1
	s_waitcnt vmcnt(11)
	v_mul_f32_e32 v1, v13, v3
	v_mul_f32_e32 v3, v12, v3
	v_fmac_f32_e32 v44, v8, v0
	v_fma_f32 v45, v9, v0, -v45
	v_fmac_f32_e32 v1, v12, v2
	v_fma_f32 v2, v13, v2, -v3
	s_waitcnt vmcnt(10)
	v_mul_f32_e32 v0, v29, v5
	v_mul_f32_e32 v5, v28, v5
	s_waitcnt vmcnt(9)
	v_mul_f32_e32 v3, v31, v25
	s_waitcnt vmcnt(8)
	v_mul_f32_e32 v8, v32, v7
	ds_write2_b64 v87, v[44:45], v[1:2] offset1:180
	v_mul_f32_e32 v2, v30, v25
	v_fmac_f32_e32 v0, v28, v4
	v_fma_f32 v1, v29, v4, -v5
	v_mul_f32_e32 v5, v33, v7
	s_waitcnt vmcnt(7)
	v_mul_f32_e32 v7, v35, v11
	v_fma_f32 v4, v31, v24, -v2
	v_mul_f32_e32 v2, v34, v11
	v_fmac_f32_e32 v3, v30, v24
	v_fmac_f32_e32 v5, v32, v6
	v_fma_f32 v6, v33, v6, -v8
	s_waitcnt vmcnt(6)
	v_mul_f32_e32 v9, v37, v27
	v_fma_f32 v8, v35, v10, -v2
	v_mul_f32_e32 v2, v36, v27
	s_waitcnt vmcnt(5)
	v_mul_f32_e32 v11, v39, v15
	v_mul_f32_e32 v12, v38, v15
	v_fmac_f32_e32 v7, v34, v10
	v_fmac_f32_e32 v9, v36, v26
	v_fma_f32 v10, v37, v26, -v2
	s_waitcnt vmcnt(4)
	v_mul_f32_e32 v13, v41, v17
	v_mul_f32_e32 v2, v40, v17
	v_fmac_f32_e32 v11, v38, v14
	s_waitcnt vmcnt(2)
	v_mul_f32_e32 v15, v21, v19
	v_mul_f32_e32 v19, v20, v19
	s_waitcnt vmcnt(0)
	v_mul_f32_e32 v17, v43, v23
	v_mul_f32_e32 v23, v42, v23
	v_fma_f32 v12, v39, v14, -v12
	v_fmac_f32_e32 v13, v40, v16
	v_fma_f32 v14, v41, v16, -v2
	v_fmac_f32_e32 v15, v20, v18
	;; [unrolled: 2-line block ×3, first 2 shown]
	v_fma_f32 v18, v43, v22, -v23
	ds_write2_b64 v46, v[0:1], v[3:4] offset0:40 offset1:220
	ds_write2_b64 v47, v[5:6], v[7:8] offset0:16 offset1:196
	;; [unrolled: 1-line block ×4, first 2 shown]
	ds_write_b64 v87, v[17:18] offset:14400
.LBB0_3:
	s_or_b32 exec_lo, exec_lo, s1
	s_clause 0x1
	s_load_dwordx2 s[0:1], s[4:5], 0x20
	s_load_dwordx2 s[2:3], s[4:5], 0x8
	v_mov_b32_e32 v0, 0
	v_mov_b32_e32 v1, 0
	s_waitcnt lgkmcnt(0)
	s_barrier
	buffer_gl0_inv
                                        ; implicit-def: $vgpr10
                                        ; implicit-def: $vgpr6
                                        ; implicit-def: $vgpr20
                                        ; implicit-def: $vgpr14
                                        ; implicit-def: $vgpr18
                                        ; kill: def $vgpr2 killed $sgpr0 killed $exec
	s_and_saveexec_b32 s4, vcc_lo
	s_cbranch_execz .LBB0_5
; %bb.4:
	v_add_nc_u32_e32 v4, 0xa00, v87
	v_add_nc_u32_e32 v5, 0x1600, v87
	;; [unrolled: 1-line block ×4, first 2 shown]
	ds_read2_b64 v[0:3], v87 offset1:180
	ds_read2_b64 v[16:19], v4 offset0:40 offset1:220
	ds_read2_b64 v[12:15], v5 offset0:16 offset1:196
	;; [unrolled: 1-line block ×4, first 2 shown]
	ds_read_b64 v[20:21], v87 offset:14400
.LBB0_5:
	s_or_b32 exec_lo, exec_lo, s4
	s_waitcnt lgkmcnt(0)
	v_sub_f32_e32 v44, v3, v21
	v_sub_f32_e32 v47, v2, v20
	v_add_f32_e32 v22, v20, v2
	v_add_f32_e32 v24, v21, v3
	v_sub_f32_e32 v45, v17, v7
	v_mul_f32_e32 v34, 0xbf0a6770, v44
	v_mul_f32_e32 v37, 0xbf0a6770, v47
	v_sub_f32_e32 v46, v16, v6
	v_add_f32_e32 v23, v6, v16
	v_mul_f32_e32 v35, 0xbf68dda4, v45
	v_fmamk_f32 v26, v22, 0x3f575c64, v34
	v_fma_f32 v27, 0x3f575c64, v24, -v37
	v_add_f32_e32 v25, v7, v17
	v_mul_f32_e32 v40, 0xbf68dda4, v46
	v_sub_f32_e32 v48, v19, v5
	v_add_f32_e32 v28, v26, v0
	v_add_f32_e32 v29, v27, v1
	v_fmamk_f32 v30, v23, 0x3ed4b147, v35
	v_sub_f32_e32 v49, v18, v4
	v_fma_f32 v31, 0x3ed4b147, v25, -v40
	v_add_f32_e32 v26, v4, v18
	v_mul_f32_e32 v38, 0xbf7d64f0, v48
	v_add_f32_e32 v27, v5, v19
	v_mul_f32_e32 v41, 0xbf7d64f0, v49
	v_add_f32_e32 v28, v30, v28
	v_add_f32_e32 v29, v31, v29
	v_sub_f32_e32 v51, v13, v11
	v_fmamk_f32 v31, v26, 0xbe11bafb, v38
	v_sub_f32_e32 v53, v12, v10
	v_fma_f32 v32, 0xbe11bafb, v27, -v41
	v_add_f32_e32 v30, v10, v12
	v_mul_f32_e32 v36, 0xbf4178ce, v51
	v_add_f32_e32 v28, v31, v28
	v_add_f32_e32 v31, v11, v13
	v_mul_f32_e32 v43, 0xbf4178ce, v53
	v_sub_f32_e32 v50, v15, v9
	v_sub_f32_e32 v52, v14, v8
	v_add_f32_e32 v29, v32, v29
	v_fmamk_f32 v54, v30, 0xbf27a4f4, v36
	v_fma_f32 v55, 0xbf27a4f4, v31, -v43
	v_add_f32_e32 v32, v8, v14
	v_add_f32_e32 v33, v9, v15
	v_mul_f32_e32 v39, 0xbe903f40, v50
	v_mul_f32_e32 v42, 0xbe903f40, v52
	v_add_f32_e32 v28, v54, v28
	v_add_f32_e32 v29, v55, v29
	v_mul_lo_u16 v90, v88, 11
	v_fmamk_f32 v54, v32, 0xbf75a155, v39
	v_fma_f32 v55, 0xbf75a155, v33, -v42
	s_barrier
	buffer_gl0_inv
	v_add_f32_e32 v28, v54, v28
	v_add_f32_e32 v29, v55, v29
	s_and_saveexec_b32 s4, vcc_lo
	s_cbranch_execz .LBB0_7
; %bb.6:
	v_add_f32_e32 v3, v3, v1
	v_add_f32_e32 v2, v2, v0
	v_mul_f32_e32 v54, 0xbe11bafb, v24
	v_mul_f32_e32 v55, 0xbf75a155, v25
	;; [unrolled: 1-line block ×3, first 2 shown]
	v_add_f32_e32 v3, v17, v3
	v_add_f32_e32 v2, v16, v2
	v_fmamk_f32 v57, v47, 0x3f7d64f0, v54
	v_mul_f32_e32 v16, 0xbf7d64f0, v44
	v_fmamk_f32 v17, v46, 0xbe903f40, v55
	v_add_f32_e32 v3, v19, v3
	v_add_f32_e32 v2, v18, v2
	;; [unrolled: 1-line block ×3, first 2 shown]
	v_fmamk_f32 v19, v22, 0xbe11bafb, v16
	v_fmamk_f32 v18, v49, 0xbf68dda4, v56
	v_add_f32_e32 v3, v13, v3
	v_add_f32_e32 v2, v12, v2
	v_mul_f32_e32 v12, 0x3e903f40, v45
	v_add_f32_e32 v17, v17, v57
	v_add_f32_e32 v13, v19, v0
	;; [unrolled: 1-line block ×4, first 2 shown]
	v_fmamk_f32 v14, v23, 0xbf75a155, v12
	v_mul_f32_e32 v15, 0x3f68dda4, v48
	v_add_f32_e32 v17, v18, v17
	v_add_f32_e32 v3, v9, v3
	v_mul_f32_e32 v18, 0x3f575c64, v31
	v_add_f32_e32 v2, v8, v2
	v_add_f32_e32 v8, v14, v13
	v_fmamk_f32 v9, v26, 0x3ed4b147, v15
	v_mul_f32_e32 v13, 0xbf0a6770, v51
	v_add_f32_e32 v19, v11, v3
	v_mul_f32_e32 v11, 0xbe903f40, v44
	v_add_f32_e32 v57, v10, v2
	v_fmamk_f32 v2, v53, 0x3f0a6770, v18
	v_add_f32_e32 v3, v9, v8
	v_fmamk_f32 v8, v30, 0x3f575c64, v13
	v_mul_f32_e32 v9, 0xbf75a155, v24
	v_fmamk_f32 v61, v22, 0xbf75a155, v11
	v_mul_f32_e32 v62, 0x3f0a6770, v45
	v_mul_f32_e32 v14, 0xbf27a4f4, v33
	;; [unrolled: 1-line block ×3, first 2 shown]
	v_add_f32_e32 v2, v2, v17
	v_add_f32_e32 v8, v8, v3
	v_fmamk_f32 v3, v47, 0x3e903f40, v9
	v_mul_f32_e32 v17, 0x3f575c64, v25
	v_add_f32_e32 v61, v61, v0
	v_fmamk_f32 v65, v23, 0x3f575c64, v62
	v_mul_f32_e32 v66, 0xbf4178ce, v48
	v_fmamk_f32 v10, v52, 0x3f4178ce, v14
	v_fmamk_f32 v59, v32, 0xbf27a4f4, v58
	v_add_f32_e32 v3, v3, v1
	v_fmamk_f32 v63, v46, 0xbf0a6770, v17
	v_mul_f32_e32 v64, 0xbf27a4f4, v27
	v_add_f32_e32 v61, v65, v61
	v_fmamk_f32 v65, v26, 0xbf27a4f4, v66
	v_mul_f32_e32 v69, 0x3f68dda4, v51
	v_add_f32_e32 v63, v63, v3
	v_fmamk_f32 v67, v49, 0x3f4178ce, v64
	v_mul_f32_e32 v68, 0x3ed4b147, v31
	v_add_f32_e32 v3, v10, v2
	v_add_f32_e32 v61, v65, v61
	v_fmamk_f32 v65, v30, 0x3ed4b147, v69
	v_fmac_f32_e32 v9, 0xbe903f40, v47
	v_add_f32_e32 v2, v59, v8
	v_fma_f32 v8, 0xbf75a155, v22, -v11
	v_add_f32_e32 v10, v67, v63
	v_fmamk_f32 v63, v53, 0xbf68dda4, v68
	v_add_f32_e32 v11, v65, v61
	v_add_f32_e32 v9, v9, v1
	v_fmac_f32_e32 v17, 0x3f0a6770, v46
	v_add_f32_e32 v8, v8, v0
	v_fma_f32 v59, 0x3f575c64, v23, -v62
	v_mul_f32_e32 v61, 0xbe11bafb, v33
	v_add_f32_e32 v10, v63, v10
	v_mul_f32_e32 v62, 0xbf7d64f0, v50
	v_add_f32_e32 v9, v17, v9
	v_fmac_f32_e32 v64, 0xbf4178ce, v49
	v_add_f32_e32 v8, v59, v8
	v_fmamk_f32 v59, v52, 0x3f7d64f0, v61
	v_fma_f32 v17, 0xbf27a4f4, v26, -v66
	v_fmamk_f32 v63, v32, 0xbe11bafb, v62
	v_add_f32_e32 v64, v64, v9
	v_fmac_f32_e32 v68, 0x3f68dda4, v53
	v_add_f32_e32 v9, v59, v10
	v_mul_f32_e32 v59, 0xbf4178ce, v47
	v_add_f32_e32 v17, v17, v8
	v_add_f32_e32 v8, v63, v11
	;; [unrolled: 1-line block ×3, first 2 shown]
	v_mul_f32_e32 v64, 0x3f7d64f0, v46
	v_fmamk_f32 v11, v24, 0xbf27a4f4, v59
	v_fma_f32 v65, 0x3ed4b147, v30, -v69
	v_mul_f32_e32 v63, 0xbf4178ce, v44
	v_mul_f32_e32 v68, 0xbf0a6770, v49
	v_fmamk_f32 v67, v25, 0xbe11bafb, v64
	v_add_f32_e32 v11, v11, v1
	v_fmac_f32_e32 v54, 0xbf7d64f0, v47
	v_add_f32_e32 v17, v65, v17
	v_fmac_f32_e32 v61, 0xbf7d64f0, v52
	v_fma_f32 v62, 0xbe11bafb, v32, -v62
	v_fma_f32 v65, 0xbf27a4f4, v22, -v63
	v_mul_f32_e32 v66, 0x3f7d64f0, v45
	v_add_f32_e32 v67, v67, v11
	v_fmamk_f32 v71, v27, 0x3f575c64, v68
	v_mul_f32_e32 v72, 0xbe903f40, v53
	v_fma_f32 v16, 0xbe11bafb, v22, -v16
	v_add_f32_e32 v54, v54, v1
	v_fmac_f32_e32 v55, 0x3e903f40, v46
	v_add_f32_e32 v65, v65, v0
	v_fma_f32 v69, 0xbe11bafb, v23, -v66
	v_mul_f32_e32 v70, 0xbf0a6770, v48
	v_add_f32_e32 v11, v61, v10
	v_add_f32_e32 v61, v71, v67
	v_fmamk_f32 v67, v31, 0xbf75a155, v72
	v_add_f32_e32 v10, v62, v17
	v_add_f32_e32 v16, v16, v0
	v_fma_f32 v12, 0xbf75a155, v23, -v12
	v_mul_f32_e32 v62, 0x3f68dda4, v52
	v_add_f32_e32 v54, v55, v54
	v_fmac_f32_e32 v56, 0x3f68dda4, v49
	v_add_f32_e32 v65, v69, v65
	v_fma_f32 v69, 0x3f575c64, v26, -v70
	v_mul_f32_e32 v73, 0xbe903f40, v51
	v_add_f32_e32 v17, v67, v61
	v_add_f32_e32 v12, v12, v16
	v_fmamk_f32 v16, v33, 0x3ed4b147, v62
	v_add_f32_e32 v54, v56, v54
	v_fmac_f32_e32 v18, 0xbf0a6770, v53
	v_add_f32_e32 v65, v69, v65
	v_fma_f32 v69, 0xbf75a155, v30, -v73
	v_fma_f32 v15, 0x3ed4b147, v26, -v15
	;; [unrolled: 1-line block ×3, first 2 shown]
	v_add_f32_e32 v13, v16, v17
	v_add_f32_e32 v16, v18, v54
	v_mul_f32_e32 v18, 0xbf68dda4, v47
	v_add_f32_e32 v61, v69, v65
	v_mul_f32_e32 v65, 0x3f68dda4, v50
	v_add_f32_e32 v15, v15, v12
	v_fmac_f32_e32 v14, 0xbf4178ce, v52
	v_mul_f32_e32 v44, 0xbf68dda4, v44
	v_fmamk_f32 v54, v24, 0x3ed4b147, v18
	v_mul_f32_e32 v46, 0xbf4178ce, v46
	v_fma_f32 v55, 0x3ed4b147, v32, -v65
	v_add_f32_e32 v17, v56, v15
	v_add_f32_e32 v15, v14, v16
	v_fma_f32 v14, 0x3ed4b147, v22, -v44
	v_mul_f32_e32 v45, 0xbf4178ce, v45
	v_add_f32_e32 v16, v54, v1
	v_fmamk_f32 v54, v25, 0xbf27a4f4, v46
	v_mul_f32_e32 v49, 0x3e903f40, v49
	v_add_f32_e32 v12, v55, v61
	v_add_f32_e32 v14, v14, v0
	v_fma_f32 v55, 0xbf27a4f4, v23, -v45
	v_mul_f32_e32 v48, 0x3e903f40, v48
	v_add_f32_e32 v16, v54, v16
	v_fmamk_f32 v54, v27, 0xbf75a155, v49
	v_mul_f32_e32 v53, 0x3f7d64f0, v53
	v_fma_f32 v47, 0xbf27a4f4, v32, -v58
	v_add_f32_e32 v55, v55, v14
	v_fma_f32 v56, 0xbf75a155, v26, -v48
	v_mul_f32_e32 v51, 0x3f7d64f0, v51
	v_add_f32_e32 v16, v54, v16
	v_fmamk_f32 v54, v31, 0xbe11bafb, v53
	v_add_f32_e32 v14, v47, v17
	v_add_f32_e32 v17, v56, v55
	v_fma_f32 v47, 0xbe11bafb, v30, -v51
	v_mul_f32_e32 v55, 0x3f575c64, v24
	v_add_f32_e32 v16, v54, v16
	v_mul_f32_e32 v52, 0x3f0a6770, v52
	v_mul_f32_e32 v54, 0x3ed4b147, v25
	v_add_f32_e32 v47, v47, v17
	v_add_f32_e32 v17, v37, v55
	v_mul_f32_e32 v37, 0x3f0a6770, v50
	v_fmamk_f32 v50, v33, 0x3f575c64, v52
	v_add_f32_e32 v40, v40, v54
	v_mul_f32_e32 v54, 0x3f575c64, v22
	v_add_f32_e32 v55, v17, v1
	v_mul_f32_e32 v56, 0xbe11bafb, v27
	;; [unrolled: 2-line block ×3, first 2 shown]
	v_sub_f32_e32 v34, v54, v34
	v_add_f32_e32 v40, v40, v55
	v_add_f32_e32 v41, v41, v56
	v_mul_f32_e32 v50, 0xbf27a4f4, v31
	v_sub_f32_e32 v16, v16, v35
	v_add_f32_e32 v34, v34, v0
	v_mul_f32_e32 v35, 0xbe11bafb, v26
	v_add_f32_e32 v40, v41, v40
	v_add_f32_e32 v41, v43, v50
	;; [unrolled: 1-line block ×4, first 2 shown]
	v_sub_f32_e32 v35, v35, v38
	v_mul_f32_e32 v38, 0xbf27a4f4, v30
	v_add_f32_e32 v40, v41, v40
	v_fma_f32 v41, 0xbf27a4f4, v24, -v59
	v_add_f32_e32 v7, v7, v19
	v_add_f32_e32 v34, v35, v34
	v_sub_f32_e32 v36, v38, v36
	v_mul_f32_e32 v38, 0xbf75a155, v32
	v_mul_f32_e32 v35, 0xbf75a155, v33
	v_add_f32_e32 v19, v4, v57
	v_fmac_f32_e32 v63, 0xbf27a4f4, v22
	v_add_f32_e32 v34, v36, v34
	v_sub_f32_e32 v36, v38, v39
	v_fma_f32 v18, 0x3ed4b147, v24, -v18
	v_fmac_f32_e32 v44, 0x3ed4b147, v22
	v_add_f32_e32 v41, v41, v1
	v_fma_f32 v43, 0xbe11bafb, v25, -v64
	v_add_f32_e32 v35, v42, v35
	v_add_f32_e32 v4, v36, v34
	;; [unrolled: 1-line block ×4, first 2 shown]
	v_fmac_f32_e32 v66, 0xbe11bafb, v23
	v_add_f32_e32 v1, v18, v1
	v_fma_f32 v18, 0xbf27a4f4, v25, -v46
	v_add_f32_e32 v0, v44, v0
	v_fmac_f32_e32 v45, 0xbf27a4f4, v23
	v_add_f32_e32 v38, v43, v41
	v_add_f32_e32 v5, v35, v40
	v_fma_f32 v35, 0x3f575c64, v27, -v68
	v_add_f32_e32 v6, v20, v6
	v_add_f32_e32 v20, v66, v34
	v_fmac_f32_e32 v70, 0x3f575c64, v26
	v_add_f32_e32 v1, v18, v1
	v_fma_f32 v18, 0xbf75a155, v27, -v49
	v_add_f32_e32 v0, v45, v0
	v_fmac_f32_e32 v48, 0xbf75a155, v26
	v_add_f32_e32 v7, v21, v7
	v_add_f32_e32 v19, v35, v38
	v_fma_f32 v21, 0xbf75a155, v31, -v72
	v_add_f32_e32 v20, v70, v20
	v_fmac_f32_e32 v73, 0xbf75a155, v30
	v_add_f32_e32 v1, v18, v1
	v_fma_f32 v18, 0xbe11bafb, v31, -v53
	v_add_f32_e32 v0, v48, v0
	v_fmac_f32_e32 v51, 0xbe11bafb, v30
	v_mov_b32_e32 v22, 3
	v_fma_f32 v54, 0x3f575c64, v32, -v37
	v_add_f32_e32 v19, v21, v19
	v_fma_f32 v21, 0x3ed4b147, v33, -v62
	v_add_f32_e32 v20, v73, v20
	v_fmac_f32_e32 v65, 0x3ed4b147, v32
	v_add_f32_e32 v18, v18, v1
	v_fma_f32 v23, 0x3f575c64, v33, -v52
	v_add_f32_e32 v24, v51, v0
	v_fmac_f32_e32 v37, 0x3f575c64, v32
	v_lshlrev_b32_sdwa v22, v22, v90 dst_sel:DWORD dst_unused:UNUSED_PAD src0_sel:DWORD src1_sel:WORD_0
	v_add_f32_e32 v16, v54, v47
	v_add_f32_e32 v1, v21, v19
	;; [unrolled: 1-line block ×5, first 2 shown]
	ds_write2_b64 v22, v[6:7], v[4:5] offset1:1
	ds_write2_b64 v22, v[16:17], v[14:15] offset0:2 offset1:3
	ds_write2_b64 v22, v[12:13], v[10:11] offset0:4 offset1:5
	;; [unrolled: 1-line block ×4, first 2 shown]
	ds_write_b64 v22, v[28:29] offset:80
.LBB0_7:
	s_or_b32 exec_lo, exec_lo, s4
	v_and_b32_e32 v0, 0xff, v88
	v_add_co_u32 v1, null, 0x318, v88
	v_mov_b32_e32 v3, 0xba2f
	v_add_co_u32 v56, null, 0xc6, v88
	v_mul_lo_u16 v0, 0x75, v0
	v_add_co_u32 v57, null, 0x18c, v88
	v_mul_u32_u24_sdwa v4, v1, v3 dst_sel:DWORD dst_unused:UNUSED_PAD src0_sel:WORD_0 src1_sel:DWORD
	v_mov_b32_e32 v38, 3
	v_lshrrev_b16 v0, 8, v0
	v_add_nc_u16 v58, v88, 0x252
	s_load_dwordx4 s[4:7], s[0:1], 0x0
	v_lshrrev_b32_e32 v23, 19, v4
	s_waitcnt lgkmcnt(0)
	v_sub_nc_u16 v2, v88, v0
	s_barrier
	buffer_gl0_inv
	v_mul_lo_u16 v4, v23, 11
	v_lshlrev_b32_sdwa v89, v38, v88 dst_sel:DWORD dst_unused:UNUSED_PAD src0_sel:DWORD src1_sel:WORD_0
	v_lshrrev_b16 v2, 1, v2
	v_mov_b32_e32 v35, 22
	v_cmp_gt_u16_e64 s0, 0x42, v88
	v_sub_nc_u16 v24, v1, v4
	v_mul_u32_u24_sdwa v1, v58, v3 dst_sel:DWORD dst_unused:UNUSED_PAD src0_sel:WORD_0 src1_sel:DWORD
	v_and_b32_e32 v2, 0x7f, v2
	v_add_nc_u32_e32 v7, 0x1800, v89
	v_add_nc_u32_e32 v15, 0x2400, v89
	v_lshlrev_b32_sdwa v4, v38, v24 dst_sel:DWORD dst_unused:UNUSED_PAD src0_sel:DWORD src1_sel:WORD_0
	v_lshrrev_b32_e32 v30, 19, v1
	v_add_nc_u16 v0, v2, v0
	v_mul_u32_u24_sdwa v2, v57, v3 dst_sel:DWORD dst_unused:UNUSED_PAD src0_sel:WORD_0 src1_sel:DWORD
	v_add_nc_u32_e32 v19, 0xc00, v89
	global_load_dwordx2 v[61:62], v4, s[2:3]
	v_mad_u16 v23, v23, 22, v24
	v_lshrrev_b16 v25, 3, v0
	v_mul_u32_u24_sdwa v0, v56, v3 dst_sel:DWORD dst_unused:UNUSED_PAD src0_sel:WORD_0 src1_sel:DWORD
	v_lshrrev_b32_e32 v27, 19, v2
	v_add_nc_u32_e32 v36, 0x1400, v89
	v_lshlrev_b32_sdwa v93, v38, v23 dst_sel:DWORD dst_unused:UNUSED_PAD src0_sel:DWORD src1_sel:WORD_0
	v_mul_lo_u16 v5, v25, 11
	v_lshrrev_b32_e32 v26, 19, v0
	v_mul_u32_u24_sdwa v25, v25, v35 dst_sel:DWORD dst_unused:UNUSED_PAD src0_sel:WORD_0 src1_sel:DWORD
	v_add_nc_u32_e32 v37, 0x2800, v89
	v_sub_nc_u16 v3, v88, v5
	v_mul_lo_u16 v4, v26, 11
	v_mul_lo_u16 v5, v27, 11
	v_and_b32_e32 v31, 0xff, v3
	v_mul_lo_u16 v3, v30, 11
	v_sub_nc_u16 v32, v56, v4
	v_sub_nc_u16 v33, v57, v5
	v_lshlrev_b32_e32 v4, 3, v31
	v_sub_nc_u16 v34, v58, v3
	v_lshlrev_b32_sdwa v3, v38, v32 dst_sel:DWORD dst_unused:UNUSED_PAD src0_sel:DWORD src1_sel:WORD_0
	v_lshlrev_b32_sdwa v5, v38, v33 dst_sel:DWORD dst_unused:UNUSED_PAD src0_sel:DWORD src1_sel:WORD_0
	v_mad_u16 v26, v26, 22, v32
	global_load_dwordx2 v[67:68], v4, s[2:3]
	v_lshlrev_b32_sdwa v4, v38, v34 dst_sel:DWORD dst_unused:UNUSED_PAD src0_sel:DWORD src1_sel:WORD_0
	s_clause 0x2
	global_load_dwordx2 v[69:70], v3, s[2:3]
	global_load_dwordx2 v[65:66], v5, s[2:3]
	global_load_dwordx2 v[63:64], v4, s[2:3]
	v_add_nc_u32_e32 v3, 0x3000, v89
	v_lshlrev_b32_sdwa v96, v38, v26 dst_sel:DWORD dst_unused:UNUSED_PAD src0_sel:DWORD src1_sel:WORD_0
	v_mad_u16 v27, v27, 22, v33
	v_mad_u16 v30, v30, 22, v34
	v_add_lshl_u32 v97, v25, v31, 3
	ds_read2_b64 v[3:6], v3 offset0:48 offset1:246
	ds_read2_b64 v[7:10], v7 offset0:24 offset1:222
	ds_read2_b64 v[11:14], v89 offset1:198
	ds_read2_b64 v[15:18], v15 offset0:36 offset1:234
	ds_read2_b64 v[19:22], v19 offset0:12 offset1:210
	v_lshlrev_b32_sdwa v95, v38, v27 dst_sel:DWORD dst_unused:UNUSED_PAD src0_sel:DWORD src1_sel:WORD_0
	v_lshlrev_b32_sdwa v94, v38, v30 dst_sel:DWORD dst_unused:UNUSED_PAD src0_sel:DWORD src1_sel:WORD_0
	s_waitcnt vmcnt(0) lgkmcnt(0)
	s_barrier
	buffer_gl0_inv
	v_mul_f32_e32 v24, v6, v62
	v_mul_f32_e32 v26, v5, v62
	v_fma_f32 v5, v5, v61, -v24
	v_fmac_f32_e32 v26, v6, v61
	v_sub_f32_e32 v44, v7, v5
	v_sub_f32_e32 v45, v8, v26
	v_fma_f32 v5, v7, 2.0, -v44
	v_mul_f32_e32 v6, v10, v68
	v_mul_f32_e32 v7, v9, v68
	;; [unrolled: 1-line block ×8, first 2 shown]
	v_fma_f32 v6, v9, v67, -v6
	v_fmac_f32_e32 v7, v10, v67
	v_fma_f32 v9, v15, v69, -v23
	v_fmac_f32_e32 v24, v16, v69
	;; [unrolled: 2-line block ×4, first 2 shown]
	v_sub_f32_e32 v3, v11, v6
	v_sub_f32_e32 v4, v12, v7
	;; [unrolled: 1-line block ×8, first 2 shown]
	v_fma_f32 v11, v11, 2.0, -v3
	v_fma_f32 v12, v12, 2.0, -v4
	;; [unrolled: 1-line block ×9, first 2 shown]
	ds_write2_b64 v97, v[11:12], v[3:4] offset1:11
	ds_write2_b64 v96, v[13:14], v[9:10] offset1:11
	;; [unrolled: 1-line block ×5, first 2 shown]
	s_waitcnt lgkmcnt(0)
	s_barrier
	buffer_gl0_inv
	ds_read2_b64 v[4:7], v89 offset1:198
	ds_read2_b64 v[24:27], v36 offset0:20 offset1:218
	ds_read2_b64 v[20:23], v37 offset0:40 offset1:238
	ds_read_b64 v[30:31], v89 offset:3168
	ds_read_b64 v[34:35], v89 offset:8448
	;; [unrolled: 1-line block ×3, first 2 shown]
                                        ; implicit-def: $vgpr36
	s_and_saveexec_b32 s1, s0
	s_cbranch_execz .LBB0_9
; %bb.8:
	ds_read_b64 v[44:45], v89 offset:4752
	ds_read_b64 v[28:29], v89 offset:10032
	;; [unrolled: 1-line block ×3, first 2 shown]
.LBB0_9:
	s_or_b32 exec_lo, exec_lo, s1
	v_lshrrev_b32_e32 v39, 20, v2
	v_lshrrev_b16 v2, 1, v88
	v_lshrrev_b32_e32 v91, 20, v1
	v_lshrrev_b32_e32 v41, 20, v0
	v_mov_b32_e32 v47, 0x42
	v_mul_lo_u16 v1, v39, 22
	v_and_b32_e32 v2, 0x7f, v2
	v_mul_lo_u16 v3, v91, 22
	v_sub_nc_u16 v40, v57, v1
	v_mul_lo_u16 v0, 0xbb, v2
	v_sub_nc_u16 v92, v58, v3
	v_mul_lo_u16 v2, v41, 22
	v_lshlrev_b16 v1, 4, v40
	v_lshrrev_b16 v42, 11, v0
	v_lshlrev_b16 v0, 4, v92
	v_sub_nc_u16 v43, v56, v2
	v_mad_u16 v39, 0x42, v39, v40
	v_and_b32_e32 v1, 0xffff, v1
	v_mul_lo_u16 v12, v42, 22
	v_and_b32_e32 v2, 0xffff, v0
	v_lshlrev_b16 v13, 4, v43
	v_mad_u16 v41, 0x42, v41, v43
	v_add_co_u32 v0, s1, s2, v1
	v_sub_nc_u16 v12, v88, v12
	v_add_co_ci_u32_e64 v1, null, s3, 0, s1
	v_add_co_u32 v2, s1, s2, v2
	v_add_co_ci_u32_e64 v3, null, s3, 0, s1
	v_and_b32_e32 v46, 0xff, v12
	v_and_b32_e32 v12, 0xffff, v13
	s_clause 0x1
	global_load_dwordx4 v[8:11], v[0:1], off offset:88
	global_load_dwordx4 v[0:3], v[2:3], off offset:88
	v_mul_u32_u24_sdwa v40, v42, v47 dst_sel:DWORD dst_unused:UNUSED_PAD src0_sel:WORD_0 src1_sel:DWORD
	v_lshlrev_b32_e32 v14, 4, v46
	v_add_co_u32 v12, s1, s2, v12
	v_add_co_ci_u32_e64 v13, null, s3, 0, s1
	s_clause 0x1
	global_load_dwordx4 v[16:19], v14, s[2:3] offset:88
	global_load_dwordx4 v[12:15], v[12:13], off offset:88
	v_lshlrev_b32_sdwa v100, v38, v41 dst_sel:DWORD dst_unused:UNUSED_PAD src0_sel:DWORD src1_sel:WORD_0
	v_lshlrev_b32_sdwa v99, v38, v39 dst_sel:DWORD dst_unused:UNUSED_PAD src0_sel:DWORD src1_sel:WORD_0
	v_add_lshl_u32 v101, v40, v46, 3
	s_waitcnt vmcnt(0) lgkmcnt(0)
	s_barrier
	buffer_gl0_inv
	v_mul_f32_e32 v38, v35, v9
	v_mul_f32_e32 v39, v34, v9
	;; [unrolled: 1-line block ×8, first 2 shown]
	v_fma_f32 v34, v34, v8, -v38
	v_fmac_f32_e32 v39, v35, v8
	v_fmac_f32_e32 v41, v33, v10
	v_fma_f32 v28, v28, v0, -v42
	v_fmac_f32_e32 v43, v29, v0
	v_fma_f32 v29, v36, v2, -v46
	v_fmac_f32_e32 v47, v37, v2
	v_mul_f32_e32 v33, v25, v17
	v_mul_f32_e32 v35, v24, v17
	;; [unrolled: 1-line block ×4, first 2 shown]
	v_fma_f32 v32, v32, v10, -v40
	v_mul_f32_e32 v38, v27, v13
	v_mul_f32_e32 v40, v26, v13
	;; [unrolled: 1-line block ×4, first 2 shown]
	v_add_f32_e32 v46, v30, v34
	v_add_f32_e32 v52, v44, v28
	v_fma_f32 v24, v24, v16, -v33
	v_fmac_f32_e32 v35, v25, v16
	v_fma_f32 v25, v20, v18, -v36
	v_fmac_f32_e32 v37, v21, v18
	v_sub_f32_e32 v49, v39, v41
	v_add_f32_e32 v51, v31, v39
	v_add_f32_e32 v39, v39, v41
	v_fma_f32 v26, v26, v12, -v38
	v_fmac_f32_e32 v40, v27, v12
	v_fma_f32 v27, v22, v14, -v42
	v_fmac_f32_e32 v50, v23, v14
	v_add_f32_e32 v48, v34, v32
	v_sub_f32_e32 v34, v34, v32
	v_add_f32_e32 v53, v28, v29
	v_sub_f32_e32 v54, v43, v47
	v_add_f32_e32 v55, v45, v43
	v_add_f32_e32 v43, v43, v47
	v_sub_f32_e32 v59, v28, v29
	v_add_f32_e32 v20, v46, v32
	v_add_f32_e32 v46, v52, v29
	;; [unrolled: 1-line block ×3, first 2 shown]
	v_sub_f32_e32 v32, v35, v37
	v_add_f32_e32 v33, v5, v35
	v_add_f32_e32 v35, v35, v37
	;; [unrolled: 1-line block ×3, first 2 shown]
	v_fmac_f32_e32 v31, -0.5, v39
	v_add_f32_e32 v39, v26, v27
	v_sub_f32_e32 v41, v40, v50
	v_add_f32_e32 v42, v7, v40
	v_add_f32_e32 v40, v40, v50
	v_fma_f32 v30, -0.5, v48, v30
	v_fmac_f32_e32 v44, -0.5, v53
	v_fmac_f32_e32 v45, -0.5, v43
	v_add_f32_e32 v28, v4, v24
	v_sub_f32_e32 v36, v24, v25
	v_fma_f32 v4, -0.5, v29, v4
	v_fma_f32 v5, -0.5, v35, v5
	v_add_f32_e32 v38, v6, v26
	v_sub_f32_e32 v43, v26, v27
	v_fma_f32 v6, -0.5, v39, v6
	v_fmac_f32_e32 v7, -0.5, v40
	v_add_f32_e32 v47, v55, v47
	v_fmamk_f32 v22, v49, 0x3f5db3d7, v30
	v_fmac_f32_e32 v30, 0xbf5db3d7, v49
	v_fmamk_f32 v48, v54, 0x3f5db3d7, v44
	v_fmac_f32_e32 v44, 0xbf5db3d7, v54
	v_fmamk_f32 v49, v59, 0xbf5db3d7, v45
	v_add_f32_e32 v24, v28, v25
	v_add_f32_e32 v25, v33, v37
	v_fmamk_f32 v28, v32, 0x3f5db3d7, v4
	v_fmamk_f32 v29, v36, 0xbf5db3d7, v5
	v_fmac_f32_e32 v45, 0x3f5db3d7, v59
	v_fmac_f32_e32 v4, 0xbf5db3d7, v32
	;; [unrolled: 1-line block ×3, first 2 shown]
	v_add_f32_e32 v26, v38, v27
	v_add_f32_e32 v27, v42, v50
	v_fmamk_f32 v32, v41, 0x3f5db3d7, v6
	v_fmamk_f32 v33, v43, 0xbf5db3d7, v7
	v_fmac_f32_e32 v6, 0xbf5db3d7, v41
	v_fmac_f32_e32 v7, 0x3f5db3d7, v43
	v_fmamk_f32 v23, v34, 0xbf5db3d7, v31
	v_fmac_f32_e32 v31, 0x3f5db3d7, v34
	ds_write2_b64 v101, v[24:25], v[28:29] offset1:22
	ds_write_b64 v101, v[4:5] offset:352
	ds_write2_b64 v100, v[26:27], v[32:33] offset1:22
	ds_write_b64 v100, v[6:7] offset:352
	;; [unrolled: 2-line block ×3, first 2 shown]
	s_and_saveexec_b32 s1, s0
	s_cbranch_execz .LBB0_11
; %bb.10:
	v_mov_b32_e32 v4, 0xba2f
	v_mov_b32_e32 v5, 3
	v_mul_u32_u24_sdwa v4, v58, v4 dst_sel:DWORD dst_unused:UNUSED_PAD src0_sel:WORD_0 src1_sel:DWORD
	v_lshrrev_b32_e32 v4, 20, v4
	v_mad_u16 v4, 0x42, v4, v92
	v_lshlrev_b32_sdwa v4, v5, v4 dst_sel:DWORD dst_unused:UNUSED_PAD src0_sel:DWORD src1_sel:WORD_0
	ds_write2_b64 v4, v[46:47], v[48:49] offset1:22
	ds_write_b64 v4, v[44:45] offset:352
.LBB0_11:
	s_or_b32 exec_lo, exec_lo, s1
	v_add_nc_u32_e32 v4, 0x1400, v89
	v_add_nc_u32_e32 v5, 0x2800, v89
	s_waitcnt lgkmcnt(0)
	s_barrier
	buffer_gl0_inv
	ds_read2_b64 v[20:23], v89 offset1:198
	ds_read2_b64 v[40:43], v4 offset0:20 offset1:218
	ds_read2_b64 v[36:39], v5 offset0:40 offset1:238
	ds_read_b64 v[50:51], v89 offset:3168
	ds_read_b64 v[54:55], v89 offset:8448
	ds_read_b64 v[52:53], v89 offset:13728
	s_and_saveexec_b32 s1, s0
	s_cbranch_execz .LBB0_13
; %bb.12:
	ds_read_b64 v[46:47], v89 offset:4752
	ds_read_b64 v[48:49], v89 offset:10032
	;; [unrolled: 1-line block ×3, first 2 shown]
.LBB0_13:
	s_or_b32 exec_lo, exec_lo, s1
	v_mov_b32_e32 v5, 0xf83f
	v_and_b32_e32 v4, 0xff, v88
	v_mov_b32_e32 v74, 0xc6
	v_mul_u32_u24_sdwa v6, v56, v5 dst_sel:DWORD dst_unused:UNUSED_PAD src0_sel:WORD_0 src1_sel:DWORD
	v_mul_lo_u16 v4, 0xf9, v4
	v_mul_u32_u24_sdwa v7, v57, v5 dst_sel:DWORD dst_unused:UNUSED_PAD src0_sel:WORD_0 src1_sel:DWORD
	v_mul_u32_u24_sdwa v5, v58, v5 dst_sel:DWORD dst_unused:UNUSED_PAD src0_sel:WORD_0 src1_sel:DWORD
	v_lshrrev_b32_e32 v71, 22, v6
	v_lshrrev_b16 v59, 14, v4
	v_lshrrev_b32_e32 v72, 22, v7
	v_lshrrev_b32_e32 v4, 22, v5
	v_mul_lo_u16 v6, 0x42, v71
	v_mul_lo_u16 v5, 0x42, v59
	;; [unrolled: 1-line block ×4, first 2 shown]
	v_mul_u32_u24_sdwa v59, v59, v74 dst_sel:DWORD dst_unused:UNUSED_PAD src0_sel:WORD_0 src1_sel:DWORD
	v_sub_nc_u16 v73, v56, v6
	v_sub_nc_u16 v5, v88, v5
	;; [unrolled: 1-line block ×4, first 2 shown]
	v_mov_b32_e32 v56, 3
	v_lshlrev_b16 v4, 4, v73
	v_and_b32_e32 v58, 0xff, v5
	v_lshlrev_b16 v5, 4, v57
	v_lshlrev_b16 v6, 4, v98
	v_mad_u16 v71, 0xc6, v71, v73
	v_and_b32_e32 v4, 0xffff, v4
	v_lshlrev_b32_e32 v7, 4, v58
	v_and_b32_e32 v24, 0xffff, v5
	v_and_b32_e32 v25, 0xffff, v6
	v_mad_u16 v57, 0xc6, v72, v57
	v_add_co_u32 v4, s1, s2, v4
	v_add_co_ci_u32_e64 v5, null, s3, 0, s1
	v_add_co_u32 v6, s1, s2, v24
	s_clause 0x1
	global_load_dwordx4 v[32:35], v7, s[2:3] offset:440
	global_load_dwordx4 v[28:31], v[4:5], off offset:440
	v_add_co_ci_u32_e64 v7, null, s3, 0, s1
	v_add_co_u32 v4, s1, s2, v25
	v_add_co_ci_u32_e64 v5, null, s3, 0, s1
	s_clause 0x1
	global_load_dwordx4 v[24:27], v[6:7], off offset:440
	global_load_dwordx4 v[4:7], v[4:5], off offset:440
	v_add_lshl_u32 v104, v59, v58, 3
	v_lshlrev_b32_sdwa v103, v56, v71 dst_sel:DWORD dst_unused:UNUSED_PAD src0_sel:DWORD src1_sel:WORD_0
	v_lshlrev_b32_sdwa v102, v56, v57 dst_sel:DWORD dst_unused:UNUSED_PAD src0_sel:DWORD src1_sel:WORD_0
	s_waitcnt vmcnt(0) lgkmcnt(0)
	s_barrier
	buffer_gl0_inv
	v_mul_f32_e32 v57, v41, v33
	v_mul_f32_e32 v58, v40, v33
	;; [unrolled: 1-line block ×5, first 2 shown]
	v_fma_f32 v40, v40, v32, -v57
	v_fmac_f32_e32 v58, v41, v32
	v_fma_f32 v41, v36, v34, -v59
	v_fmac_f32_e32 v71, v37, v34
	v_mul_f32_e32 v57, v43, v29
	v_mul_f32_e32 v73, v38, v31
	;; [unrolled: 1-line block ×11, first 2 shown]
	v_fma_f32 v42, v42, v28, -v57
	v_fma_f32 v57, v38, v30, -v72
	v_fmac_f32_e32 v73, v39, v30
	v_fma_f32 v39, v48, v4, -v78
	v_fmac_f32_e32 v37, v49, v4
	;; [unrolled: 2-line block ×3, first 2 shown]
	v_fmac_f32_e32 v59, v43, v28
	v_add_f32_e32 v45, v40, v41
	v_fma_f32 v43, v54, v24, -v74
	v_fmac_f32_e32 v75, v55, v24
	v_fma_f32 v52, v52, v26, -v76
	v_fmac_f32_e32 v77, v53, v26
	v_add_f32_e32 v44, v20, v40
	v_add_f32_e32 v49, v21, v58
	v_add_f32_e32 v53, v58, v71
	v_add_f32_e32 v78, v39, v38
	v_add_f32_e32 v80, v37, v36
	v_fma_f32 v20, -0.5, v45, v20
	v_add_f32_e32 v45, v42, v57
	v_add_f32_e32 v55, v59, v73
	v_sub_f32_e32 v48, v58, v71
	v_sub_f32_e32 v54, v40, v41
	v_add_f32_e32 v40, v44, v41
	v_add_f32_e32 v41, v49, v71
	;; [unrolled: 1-line block ×3, first 2 shown]
	v_sub_f32_e32 v72, v75, v77
	v_add_f32_e32 v74, v51, v75
	v_add_f32_e32 v75, v75, v77
	v_fma_f32 v21, -0.5, v53, v21
	v_sub_f32_e32 v79, v37, v36
	v_sub_f32_e32 v85, v39, v38
	v_fma_f32 v81, -0.5, v78, v46
	v_fma_f32 v82, -0.5, v80, v47
	v_add_f32_e32 v44, v22, v42
	v_sub_f32_e32 v53, v59, v73
	v_add_f32_e32 v49, v23, v59
	v_sub_f32_e32 v58, v42, v57
	v_add_f32_e32 v59, v50, v43
	v_fma_f32 v22, -0.5, v45, v22
	v_fmac_f32_e32 v23, -0.5, v55
	v_sub_f32_e32 v76, v43, v52
	v_fma_f32 v50, -0.5, v71, v50
	v_fmac_f32_e32 v51, -0.5, v75
	v_fmamk_f32 v42, v48, 0x3f5db3d7, v20
	v_fmamk_f32 v43, v54, 0xbf5db3d7, v21
	;; [unrolled: 1-line block ×3, first 2 shown]
	v_fmac_f32_e32 v81, 0xbf5db3d7, v79
	v_fmamk_f32 v84, v85, 0xbf5db3d7, v82
	v_fmac_f32_e32 v82, 0x3f5db3d7, v85
	v_fmac_f32_e32 v20, 0xbf5db3d7, v48
	;; [unrolled: 1-line block ×3, first 2 shown]
	v_add_f32_e32 v44, v44, v57
	v_add_f32_e32 v45, v49, v73
	;; [unrolled: 1-line block ×3, first 2 shown]
	v_fmamk_f32 v52, v53, 0x3f5db3d7, v22
	v_fmac_f32_e32 v22, 0xbf5db3d7, v53
	v_fmamk_f32 v53, v58, 0xbf5db3d7, v23
	v_fmac_f32_e32 v23, 0x3f5db3d7, v58
	v_add_f32_e32 v49, v74, v77
	v_fmamk_f32 v54, v72, 0x3f5db3d7, v50
	v_fmamk_f32 v55, v76, 0xbf5db3d7, v51
	v_fmac_f32_e32 v50, 0xbf5db3d7, v72
	v_fmac_f32_e32 v51, 0x3f5db3d7, v76
	ds_write2_b64 v104, v[40:41], v[42:43] offset1:66
	ds_write_b64 v104, v[20:21] offset:1056
	ds_write2_b64 v103, v[44:45], v[52:53] offset1:66
	ds_write_b64 v103, v[22:23] offset:1056
	;; [unrolled: 2-line block ×3, first 2 shown]
	s_and_saveexec_b32 s1, s0
	s_cbranch_execz .LBB0_15
; %bb.14:
	v_add_f32_e32 v20, v47, v37
	v_add_f32_e32 v22, v46, v39
	v_lshlrev_b32_sdwa v23, v56, v98 dst_sel:DWORD dst_unused:UNUSED_PAD src0_sel:DWORD src1_sel:WORD_0
	v_add_f32_e32 v21, v20, v36
	v_add_f32_e32 v20, v22, v38
	v_add_nc_u32_e32 v22, 0x3400, v23
	ds_write2_b64 v22, v[20:21], v[83:84] offset0:118 offset1:184
	ds_write_b64 v23, v[81:82] offset:15312
.LBB0_15:
	s_or_b32 exec_lo, exec_lo, s1
	v_lshlrev_b32_e32 v71, 5, v88
	s_waitcnt lgkmcnt(0)
	s_barrier
	buffer_gl0_inv
	v_add_nc_u32_e32 v85, 0xc00, v89
	s_clause 0x1
	global_load_dwordx4 v[36:39], v71, s[2:3] offset:1496
	global_load_dwordx4 v[20:23], v71, s[2:3] offset:1512
	v_add_nc_u32_e32 v86, 0x1800, v89
	v_add_nc_u32_e32 v106, 0x2400, v89
	v_add_nc_u32_e32 v105, 0x3000, v89
	ds_read2_b64 v[40:43], v89 offset1:198
	ds_read2_b64 v[44:47], v85 offset0:12 offset1:210
	ds_read2_b64 v[48:51], v86 offset0:24 offset1:222
	;; [unrolled: 1-line block ×4, first 2 shown]
	v_mul_i32_i24_e32 v73, 0xffffffe8, v88
	v_add_co_u32 v71, s1, s2, v71
	v_mul_hi_i32_i24_e32 v72, 0xffffffe8, v88
	v_add_co_ci_u32_e64 v74, null, s3, 0, s1
	v_add_co_u32 v79, s1, v71, v73
	s_waitcnt vmcnt(0) lgkmcnt(0)
	v_add_co_ci_u32_e64 v80, s1, v74, v72, s1
	v_add_co_u32 v71, s1, 0x1800, v79
	s_barrier
	v_add_co_ci_u32_e64 v72, s1, 0, v80, s1
	v_add_co_u32 v73, s1, 0x2000, v79
	v_add_co_ci_u32_e64 v74, s1, 0, v80, s1
	v_add_co_u32 v75, s1, 0x2800, v79
	v_add_co_ci_u32_e64 v76, s1, 0, v80, s1
	buffer_gl0_inv
	v_mul_f32_e32 v77, v45, v37
	v_mul_f32_e32 v78, v44, v37
	;; [unrolled: 1-line block ×16, first 2 shown]
	v_fma_f32 v44, v44, v36, -v77
	v_fmac_f32_e32 v78, v45, v36
	v_fma_f32 v45, v48, v38, -v107
	v_fmac_f32_e32 v108, v49, v38
	;; [unrolled: 2-line block ×8, first 2 shown]
	v_add_f32_e32 v49, v40, v44
	v_add_f32_e32 v50, v45, v48
	v_add_f32_e32 v109, v108, v110
	v_sub_f32_e32 v51, v44, v45
	v_sub_f32_e32 v53, v56, v48
	v_add_f32_e32 v54, v44, v56
	v_add_f32_e32 v107, v41, v78
	;; [unrolled: 1-line block ×3, first 2 shown]
	v_sub_f32_e32 v55, v45, v44
	v_sub_f32_e32 v77, v48, v56
	v_add_f32_e32 v122, v42, v46
	v_add_f32_e32 v123, v47, v52
	;; [unrolled: 1-line block ×6, first 2 shown]
	v_sub_f32_e32 v57, v78, v112
	v_sub_f32_e32 v111, v44, v56
	;; [unrolled: 1-line block ×3, first 2 shown]
	v_add_f32_e32 v49, v49, v45
	v_fma_f32 v44, -0.5, v50, v40
	v_fma_f32 v45, -0.5, v109, v41
	v_sub_f32_e32 v59, v108, v110
	v_add_f32_e32 v139, v51, v53
	v_fma_f32 v40, -0.5, v54, v40
	v_add_f32_e32 v51, v107, v108
	v_fma_f32 v41, -0.5, v119, v41
	v_sub_f32_e32 v115, v78, v108
	v_sub_f32_e32 v117, v112, v110
	;; [unrolled: 1-line block ×8, first 2 shown]
	v_add_f32_e32 v77, v55, v77
	v_add_f32_e32 v53, v122, v47
	v_fma_f32 v46, -0.5, v123, v42
	v_fma_f32 v42, -0.5, v128, v42
	v_add_f32_e32 v55, v131, v116
	v_fma_f32 v47, -0.5, v132, v43
	v_fmac_f32_e32 v43, -0.5, v137
	v_sub_f32_e32 v135, v114, v116
	v_sub_f32_e32 v114, v116, v114
	v_add_f32_e32 v116, v49, v48
	v_fmamk_f32 v48, v57, 0x3f737871, v44
	v_fmamk_f32 v49, v111, 0xbf737871, v45
	v_sub_f32_e32 v78, v108, v78
	v_sub_f32_e32 v121, v110, v112
	v_fmamk_f32 v50, v59, 0xbf737871, v40
	v_fmac_f32_e32 v40, 0x3f737871, v59
	v_add_f32_e32 v110, v51, v110
	v_fmamk_f32 v51, v113, 0x3f737871, v41
	v_fmac_f32_e32 v41, 0xbf737871, v113
	v_fmac_f32_e32 v44, 0xbf737871, v57
	;; [unrolled: 1-line block ×3, first 2 shown]
	v_sub_f32_e32 v127, v58, v52
	v_sub_f32_e32 v130, v52, v58
	;; [unrolled: 1-line block ×4, first 2 shown]
	v_add_f32_e32 v107, v115, v117
	v_add_f32_e32 v117, v53, v52
	v_fmamk_f32 v52, v124, 0x3f737871, v46
	v_fmamk_f32 v54, v125, 0xbf737871, v42
	v_add_f32_e32 v118, v55, v118
	v_fmamk_f32 v53, v133, 0xbf737871, v47
	v_fmamk_f32 v55, v134, 0x3f737871, v43
	v_fmac_f32_e32 v46, 0xbf737871, v124
	v_fmac_f32_e32 v42, 0x3f737871, v125
	;; [unrolled: 1-line block ×6, first 2 shown]
	v_add_f32_e32 v78, v78, v121
	v_fmac_f32_e32 v50, 0x3f167918, v57
	v_fmac_f32_e32 v40, 0xbf167918, v57
	v_fmac_f32_e32 v51, 0xbf167918, v111
	v_fmac_f32_e32 v41, 0x3f167918, v111
	v_fmac_f32_e32 v44, 0xbf167918, v59
	v_fmac_f32_e32 v45, 0x3f167918, v113
	v_add_f32_e32 v108, v126, v127
	v_add_f32_e32 v109, v129, v130
	;; [unrolled: 1-line block ×4, first 2 shown]
	v_fmac_f32_e32 v52, 0x3f167918, v125
	v_fmac_f32_e32 v54, 0x3f167918, v124
	;; [unrolled: 1-line block ×8, first 2 shown]
	v_add_f32_e32 v56, v116, v56
	v_add_f32_e32 v57, v110, v112
	v_fmac_f32_e32 v48, 0x3e9e377a, v139
	v_fmac_f32_e32 v49, 0x3e9e377a, v107
	;; [unrolled: 1-line block ×6, first 2 shown]
	v_add_f32_e32 v58, v117, v58
	v_add_f32_e32 v59, v118, v120
	v_fmac_f32_e32 v44, 0x3e9e377a, v139
	v_fmac_f32_e32 v45, 0x3e9e377a, v107
	;; [unrolled: 1-line block ×10, first 2 shown]
	ds_write2_b64 v89, v[56:57], v[48:49] offset1:198
	ds_write2_b64 v85, v[50:51], v[40:41] offset0:12 offset1:210
	ds_write2_b64 v86, v[44:45], v[58:59] offset0:24 offset1:222
	;; [unrolled: 1-line block ×4, first 2 shown]
	v_add_co_u32 v40, s1, 0x3000, v79
	v_add_co_ci_u32_e64 v41, s1, 0, v80, s1
	s_waitcnt lgkmcnt(0)
	s_barrier
	buffer_gl0_inv
	s_clause 0x4
	global_load_dwordx2 v[77:78], v[71:72], off offset:1688
	global_load_dwordx2 v[79:80], v[73:74], off offset:1224
	global_load_dwordx2 v[73:74], v[75:76], off offset:760
	global_load_dwordx2 v[71:72], v[40:41], off offset:296
	global_load_dwordx2 v[75:76], v[40:41], off offset:1880
	ds_read2_b64 v[44:47], v86 offset0:24 offset1:222
	ds_read2_b64 v[40:43], v106 offset0:36 offset1:234
	;; [unrolled: 1-line block ×3, first 2 shown]
	ds_read2_b64 v[107:110], v89 offset1:198
	ds_read2_b64 v[111:114], v85 offset0:12 offset1:210
	s_waitcnt vmcnt(3) lgkmcnt(3)
	v_mul_f32_e32 v54, v41, v80
	v_mul_f32_e32 v55, v40, v80
	;; [unrolled: 1-line block ×4, first 2 shown]
	s_waitcnt vmcnt(2)
	v_mul_f32_e32 v56, v43, v74
	v_mul_f32_e32 v57, v42, v74
	s_waitcnt vmcnt(1) lgkmcnt(2)
	v_mul_f32_e32 v58, v49, v72
	v_mul_f32_e32 v115, v48, v72
	s_waitcnt vmcnt(0)
	v_mul_f32_e32 v59, v51, v76
	v_mul_f32_e32 v116, v50, v76
	v_fma_f32 v46, v46, v77, -v52
	v_fmac_f32_e32 v53, v47, v77
	v_fma_f32 v40, v40, v79, -v54
	v_fmac_f32_e32 v55, v41, v79
	v_fma_f32 v41, v42, v73, -v56
	v_fmac_f32_e32 v57, v43, v73
	v_fma_f32 v47, v48, v71, -v58
	v_fmac_f32_e32 v115, v49, v71
	v_fma_f32 v48, v50, v75, -v59
	v_fmac_f32_e32 v116, v51, v75
	s_waitcnt lgkmcnt(1)
	v_sub_f32_e32 v42, v107, v46
	v_sub_f32_e32 v43, v108, v53
	;; [unrolled: 1-line block ×4, first 2 shown]
	s_waitcnt lgkmcnt(0)
	v_sub_f32_e32 v54, v111, v41
	v_sub_f32_e32 v55, v112, v57
	;; [unrolled: 1-line block ×6, first 2 shown]
	v_fma_f32 v40, v107, 2.0, -v42
	v_fma_f32 v41, v108, 2.0, -v43
	;; [unrolled: 1-line block ×10, first 2 shown]
	ds_write2_b64 v106, v[58:59], v[54:55] offset0:36 offset1:234
	ds_write2_b64 v105, v[50:51], v[46:47] offset0:48 offset1:246
	ds_write2_b64 v89, v[40:41], v[56:57] offset1:198
	ds_write2_b64 v85, v[52:53], v[48:49] offset0:12 offset1:210
	ds_write2_b64 v86, v[44:45], v[42:43] offset0:24 offset1:222
	s_waitcnt lgkmcnt(0)
	s_barrier
	buffer_gl0_inv
	s_and_saveexec_b32 s2, vcc_lo
	s_cbranch_execz .LBB0_17
; %bb.16:
	v_add_co_u32 v115, s1, s14, v87
	v_add_co_ci_u32_e64 v116, null, s15, 0, s1
	v_add_nc_u32_e32 v145, 0x400, v87
	v_add_co_u32 v85, s1, 0x3800, v115
	v_add_co_ci_u32_e64 v86, s1, 0, v116, s1
	v_add_co_u32 v105, s1, 0x3de0, v115
	v_add_co_ci_u32_e64 v106, s1, 0, v116, s1
	global_load_dwordx2 v[85:86], v[85:86], off offset:1504
	v_add_co_u32 v107, s1, 0x4800, v115
	v_add_co_ci_u32_e64 v108, s1, 0, v116, s1
	v_add_co_u32 v109, s1, 0x5000, v115
	v_add_co_ci_u32_e64 v110, s1, 0, v116, s1
	;; [unrolled: 2-line block ×4, first 2 shown]
	s_clause 0x2
	global_load_dwordx2 v[125:126], v[107:108], off offset:288
	global_load_dwordx2 v[127:128], v[107:108], off offset:1728
	;; [unrolled: 1-line block ×3, first 2 shown]
	v_add_co_u32 v105, s1, 0x6800, v115
	v_add_co_ci_u32_e64 v106, s1, 0, v116, s1
	v_add_co_u32 v107, s1, 0x7000, v115
	v_add_co_ci_u32_e64 v108, s1, 0, v116, s1
	s_clause 0x6
	global_load_dwordx2 v[131:132], v[109:110], off offset:1120
	global_load_dwordx2 v[133:134], v[111:112], off offset:512
	;; [unrolled: 1-line block ×7, first 2 shown]
	ds_read_b64 v[105:106], v89
	v_add_nc_u32_e32 v146, 0x1000, v87
	v_add_nc_u32_e32 v147, 0x1c00, v87
	;; [unrolled: 1-line block ×4, first 2 shown]
	s_waitcnt vmcnt(10) lgkmcnt(0)
	v_mul_f32_e32 v107, v106, v86
	v_mul_f32_e32 v108, v105, v86
	v_fma_f32 v107, v105, v85, -v107
	v_fmac_f32_e32 v108, v106, v85
	ds_write_b64 v89, v[107:108]
	ds_read2_b64 v[105:108], v145 offset0:52 offset1:232
	ds_read2_b64 v[109:112], v146 offset0:28 offset1:208
	;; [unrolled: 1-line block ×5, first 2 shown]
	s_waitcnt vmcnt(7) lgkmcnt(4)
	v_mul_f32_e32 v85, v106, v130
	v_mul_f32_e32 v86, v105, v130
	;; [unrolled: 1-line block ×4, first 2 shown]
	s_waitcnt lgkmcnt(3)
	v_mul_f32_e32 v151, v110, v128
	v_mul_f32_e32 v126, v109, v128
	s_waitcnt vmcnt(6)
	v_mul_f32_e32 v152, v112, v132
	v_mul_f32_e32 v128, v111, v132
	s_waitcnt vmcnt(5) lgkmcnt(2)
	v_mul_f32_e32 v153, v114, v134
	v_mul_f32_e32 v132, v113, v134
	s_waitcnt vmcnt(4)
	v_mul_f32_e32 v154, v116, v136
	v_mul_f32_e32 v134, v115, v136
	s_waitcnt vmcnt(3) lgkmcnt(1)
	;; [unrolled: 6-line block ×3, first 2 shown]
	v_mul_f32_e32 v157, v122, v142
	v_mul_f32_e32 v140, v121, v142
	s_waitcnt vmcnt(0)
	v_mul_f32_e32 v158, v124, v144
	v_mul_f32_e32 v142, v123, v144
	v_fma_f32 v85, v105, v129, -v85
	v_fmac_f32_e32 v86, v106, v129
	v_fma_f32 v129, v107, v125, -v150
	v_fmac_f32_e32 v130, v108, v125
	;; [unrolled: 2-line block ×10, first 2 shown]
	ds_write2_b64 v145, v[85:86], v[129:130] offset0:52 offset1:232
	ds_write2_b64 v146, v[125:126], v[127:128] offset0:28 offset1:208
	;; [unrolled: 1-line block ×5, first 2 shown]
.LBB0_17:
	s_or_b32 exec_lo, exec_lo, s2
	s_waitcnt lgkmcnt(0)
	s_barrier
	buffer_gl0_inv
	s_and_saveexec_b32 s1, vcc_lo
	s_cbranch_execz .LBB0_19
; %bb.18:
	v_add_nc_u32_e32 v44, 0xa00, v89
	v_add_nc_u32_e32 v45, 0x1600, v89
	;; [unrolled: 1-line block ×4, first 2 shown]
	ds_read2_b64 v[40:43], v89 offset1:180
	ds_read2_b64 v[56:59], v44 offset0:40 offset1:220
	ds_read2_b64 v[52:55], v45 offset0:16 offset1:196
	;; [unrolled: 1-line block ×4, first 2 shown]
	ds_read_b64 v[83:84], v89 offset:14400
.LBB0_19:
	s_or_b32 exec_lo, exec_lo, s1
	s_waitcnt lgkmcnt(0)
	v_sub_f32_e32 v125, v43, v84
	v_add_f32_e32 v130, v84, v43
	v_add_f32_e32 v105, v83, v42
	v_sub_f32_e32 v108, v42, v83
	v_sub_f32_e32 v126, v57, v47
	v_mul_f32_e32 v115, 0xbf0a6770, v125
	v_mul_f32_e32 v122, 0x3f575c64, v130
	v_add_f32_e32 v131, v47, v57
	v_add_f32_e32 v106, v46, v56
	v_mul_f32_e32 v116, 0xbf68dda4, v126
	v_fma_f32 v85, 0x3f575c64, v105, -v115
	v_fmamk_f32 v86, v108, 0xbf0a6770, v122
	v_sub_f32_e32 v107, v56, v46
	v_mul_f32_e32 v120, 0x3ed4b147, v131
	v_sub_f32_e32 v128, v59, v45
	v_add_f32_e32 v85, v40, v85
	v_add_f32_e32 v86, v41, v86
	v_fma_f32 v111, 0x3ed4b147, v106, -v116
	v_add_f32_e32 v132, v45, v59
	v_fmamk_f32 v112, v107, 0xbf68dda4, v120
	v_add_f32_e32 v109, v44, v58
	v_mul_f32_e32 v117, 0xbf7d64f0, v128
	v_sub_f32_e32 v110, v58, v44
	v_mul_f32_e32 v121, 0xbe11bafb, v132
	v_add_f32_e32 v85, v111, v85
	v_add_f32_e32 v86, v112, v86
	v_sub_f32_e32 v129, v53, v51
	v_fma_f32 v112, 0xbe11bafb, v109, -v117
	v_add_f32_e32 v133, v51, v53
	v_fmamk_f32 v113, v110, 0xbf7d64f0, v121
	v_add_f32_e32 v111, v50, v52
	v_mul_f32_e32 v118, 0xbf4178ce, v129
	v_add_f32_e32 v85, v112, v85
	v_sub_f32_e32 v112, v52, v50
	v_mul_f32_e32 v123, 0xbf27a4f4, v133
	v_sub_f32_e32 v127, v55, v49
	v_add_f32_e32 v134, v49, v55
	v_add_f32_e32 v86, v113, v86
	v_fma_f32 v135, 0xbf27a4f4, v111, -v118
	v_fmamk_f32 v136, v112, 0xbf4178ce, v123
	v_add_f32_e32 v113, v48, v54
	v_sub_f32_e32 v114, v54, v48
	v_mul_f32_e32 v119, 0xbe903f40, v127
	v_mul_f32_e32 v124, 0xbf75a155, v134
	v_add_f32_e32 v85, v135, v85
	v_add_f32_e32 v86, v136, v86
	v_fma_f32 v135, 0xbf75a155, v113, -v119
	v_fmamk_f32 v136, v114, 0xbe903f40, v124
	s_barrier
	buffer_gl0_inv
	v_add_f32_e32 v85, v135, v85
	v_add_f32_e32 v86, v136, v86
	s_and_saveexec_b32 s1, vcc_lo
	s_cbranch_execz .LBB0_21
; %bb.20:
	v_mul_f32_e32 v141, 0xbf7d64f0, v108
	v_mul_f32_e32 v142, 0x3e903f40, v107
	v_mul_f32_e32 v150, 0x3f68dda4, v110
	v_mul_f32_e32 v153, 0xbf7d64f0, v125
	v_mul_f32_e32 v154, 0xbf0a6770, v112
	v_fmamk_f32 v135, v130, 0xbe11bafb, v141
	v_fmamk_f32 v136, v131, 0xbf75a155, v142
	v_mul_f32_e32 v156, 0x3e903f40, v126
	v_fma_f32 v137, 0xbe11bafb, v105, -v153
	v_mul_f32_e32 v157, 0xbf4178ce, v114
	v_add_f32_e32 v135, v41, v135
	v_mul_f32_e32 v158, 0x3f68dda4, v128
	v_fma_f32 v138, 0xbf75a155, v106, -v156
	v_add_f32_e32 v137, v40, v137
	v_mul_f32_e32 v139, 0xbe903f40, v108
	v_add_f32_e32 v135, v136, v135
	v_fmamk_f32 v136, v132, 0x3ed4b147, v150
	v_mul_f32_e32 v159, 0xbf0a6770, v129
	v_add_f32_e32 v137, v138, v137
	v_fma_f32 v138, 0x3ed4b147, v109, -v158
	v_mul_f32_e32 v140, 0x3f0a6770, v107
	v_add_f32_e32 v135, v136, v135
	v_fmamk_f32 v136, v133, 0x3f575c64, v154
	v_mul_f32_e32 v160, 0xbf4178ce, v127
	v_add_f32_e32 v137, v138, v137
	v_fma_f32 v138, 0x3f575c64, v111, -v159
	v_fmamk_f32 v161, v131, 0x3f575c64, v140
	v_add_f32_e32 v135, v136, v135
	v_fmamk_f32 v136, v134, 0xbf27a4f4, v157
	v_mul_f32_e32 v162, 0xbf4178ce, v110
	v_add_f32_e32 v137, v138, v137
	v_fma_f32 v138, 0xbf27a4f4, v113, -v160
	v_mul_f32_e32 v163, 0xbe903f40, v125
	v_add_f32_e32 v136, v136, v135
	v_fmamk_f32 v135, v130, 0xbf75a155, v139
	v_fmamk_f32 v164, v132, 0xbf27a4f4, v162
	v_mul_f32_e32 v165, 0x3f68dda4, v112
	v_mul_f32_e32 v166, 0x3f0a6770, v126
	;; [unrolled: 1-line block ×3, first 2 shown]
	v_add_f32_e32 v135, v41, v135
	v_fma_f32 v139, 0xbf75a155, v130, -v139
	v_mul_f32_e32 v169, 0x3f68dda4, v129
	v_fma_f32 v167, 0x3f575c64, v106, -v166
	v_fma_f32 v140, 0x3f575c64, v131, -v140
	v_add_f32_e32 v161, v161, v135
	v_add_f32_e32 v135, v138, v137
	v_fma_f32 v137, 0xbf75a155, v105, -v163
	v_add_f32_e32 v139, v41, v139
	v_fmac_f32_e32 v163, 0xbf75a155, v105
	v_add_f32_e32 v138, v164, v161
	v_fmamk_f32 v161, v133, 0x3ed4b147, v165
	v_mul_f32_e32 v164, 0xbf7d64f0, v114
	v_add_f32_e32 v137, v40, v137
	v_add_f32_e32 v139, v140, v139
	v_fma_f32 v140, 0xbf27a4f4, v132, -v162
	v_add_f32_e32 v138, v161, v138
	v_fmamk_f32 v161, v134, 0xbe11bafb, v164
	v_add_f32_e32 v137, v167, v137
	v_fma_f32 v167, 0xbf27a4f4, v109, -v168
	v_add_f32_e32 v162, v40, v163
	v_fmac_f32_e32 v166, 0x3f575c64, v106
	v_add_f32_e32 v138, v161, v138
	v_fma_f32 v161, 0x3ed4b147, v111, -v169
	v_add_f32_e32 v137, v167, v137
	v_mul_f32_e32 v167, 0xbf7d64f0, v127
	v_add_f32_e32 v139, v140, v139
	v_fma_f32 v140, 0x3ed4b147, v133, -v165
	v_mul_f32_e32 v163, 0xbf27a4f4, v130
	v_add_f32_e32 v137, v161, v137
	v_fma_f32 v161, 0xbe11bafb, v113, -v167
	v_fmac_f32_e32 v168, 0xbf27a4f4, v109
	v_add_f32_e32 v139, v140, v139
	v_fmamk_f32 v140, v108, 0x3f4178ce, v163
	v_fma_f32 v164, 0xbe11bafb, v134, -v164
	v_add_f32_e32 v137, v161, v137
	v_add_f32_e32 v161, v166, v162
	v_mul_f32_e32 v162, 0xbe11bafb, v131
	v_fmac_f32_e32 v169, 0x3ed4b147, v111
	v_add_f32_e32 v165, v41, v140
	v_add_f32_e32 v140, v164, v139
	;; [unrolled: 1-line block ×3, first 2 shown]
	v_fmamk_f32 v166, v107, 0xbf7d64f0, v162
	v_mul_f32_e32 v168, 0x3f575c64, v132
	v_mul_f32_e32 v164, 0xbf4178ce, v125
	;; [unrolled: 1-line block ×3, first 2 shown]
	v_add_f32_e32 v139, v169, v161
	v_add_f32_e32 v161, v166, v165
	v_fmamk_f32 v165, v110, 0x3f0a6770, v168
	v_mul_f32_e32 v166, 0xbf75a155, v133
	v_fmamk_f32 v169, v105, 0xbf27a4f4, v164
	v_fmamk_f32 v171, v106, 0xbe11bafb, v170
	v_fma_f32 v141, 0xbe11bafb, v130, -v141
	v_add_f32_e32 v161, v165, v161
	v_fmamk_f32 v165, v112, 0x3e903f40, v166
	v_add_f32_e32 v169, v40, v169
	v_fma_f32 v142, 0xbf75a155, v131, -v142
	v_add_f32_e32 v141, v41, v141
	v_fma_f32 v150, 0x3ed4b147, v132, -v150
	v_add_f32_e32 v161, v165, v161
	v_add_f32_e32 v165, v171, v169
	v_mul_f32_e32 v171, 0x3ed4b147, v134
	v_add_f32_e32 v141, v142, v141
	v_fmac_f32_e32 v153, 0xbe11bafb, v105
	v_fma_f32 v154, 0x3f575c64, v133, -v154
	v_fmac_f32_e32 v156, 0xbf75a155, v106
	v_fmamk_f32 v174, v114, 0xbf68dda4, v171
	v_add_f32_e32 v150, v150, v141
	v_mul_f32_e32 v132, 0xbf75a155, v132
	v_mul_f32_e32 v133, 0xbe11bafb, v133
	;; [unrolled: 1-line block ×3, first 2 shown]
	v_add_f32_e32 v142, v174, v161
	v_mul_f32_e32 v161, 0x3ed4b147, v130
	v_add_f32_e32 v130, v40, v153
	v_add_f32_e32 v150, v154, v150
	v_fma_f32 v153, 0xbf27a4f4, v134, -v157
	v_mul_f32_e32 v157, 0xbf27a4f4, v131
	v_fmamk_f32 v154, v108, 0x3f68dda4, v161
	v_add_f32_e32 v130, v156, v130
	v_mul_f32_e32 v156, 0xbf4178ce, v126
	v_add_f32_e32 v131, v153, v150
	v_fmamk_f32 v153, v107, 0x3f4178ce, v157
	v_add_f32_e32 v150, v41, v154
	v_mul_f32_e32 v154, 0xbf68dda4, v125
	v_fmamk_f32 v126, v112, 0xbf7d64f0, v133
	v_mul_f32_e32 v134, 0x3f575c64, v134
	v_mul_f32_e32 v128, 0x3e903f40, v128
	v_add_f32_e32 v125, v153, v150
	v_fmamk_f32 v150, v110, 0xbe903f40, v132
	v_fmamk_f32 v153, v105, 0x3ed4b147, v154
	v_mul_f32_e32 v144, 0xbf0a6770, v108
	v_mul_f32_e32 v169, 0xbe903f40, v129
	;; [unrolled: 1-line block ×3, first 2 shown]
	v_add_f32_e32 v125, v150, v125
	v_add_f32_e32 v150, v40, v153
	v_fmamk_f32 v153, v106, 0xbf27a4f4, v156
	v_add_f32_e32 v43, v43, v41
	v_mul_f32_e32 v173, 0x3f68dda4, v127
	v_add_f32_e32 v125, v126, v125
	v_fmamk_f32 v126, v114, 0xbf0a6770, v134
	v_add_f32_e32 v150, v153, v150
	v_fmamk_f32 v153, v109, 0xbf75a155, v128
	v_sub_f32_e32 v122, v122, v144
	v_fmamk_f32 v144, v111, 0xbe11bafb, v129
	v_add_f32_e32 v126, v126, v125
	v_mul_f32_e32 v127, 0x3f0a6770, v127
	v_add_f32_e32 v125, v153, v150
	v_add_f32_e32 v43, v57, v43
	;; [unrolled: 1-line block ×3, first 2 shown]
	v_mul_f32_e32 v143, 0x3f575c64, v105
	v_mul_f32_e32 v145, 0x3ed4b147, v106
	v_add_f32_e32 v57, v144, v125
	v_fmamk_f32 v125, v113, 0x3f575c64, v127
	v_add_f32_e32 v43, v59, v43
	v_add_f32_e32 v42, v56, v42
	v_mul_f32_e32 v147, 0xbe11bafb, v109
	v_mul_f32_e32 v149, 0xbf27a4f4, v111
	v_add_f32_e32 v125, v125, v57
	v_add_f32_e32 v57, v143, v115
	v_add_f32_e32 v43, v53, v43
	v_add_f32_e32 v42, v58, v42
	v_mul_f32_e32 v152, 0xbf75a155, v113
	v_fmac_f32_e32 v163, 0xbf4178ce, v108
	v_add_f32_e32 v57, v40, v57
	v_add_f32_e32 v43, v55, v43
	v_add_f32_e32 v42, v52, v42
	v_add_f32_e32 v52, v145, v116
	v_fmac_f32_e32 v162, 0x3f7d64f0, v107
	v_fmac_f32_e32 v168, 0xbf0a6770, v110
	v_add_f32_e32 v49, v49, v43
	v_add_f32_e32 v42, v54, v42
	;; [unrolled: 1-line block ×4, first 2 shown]
	v_mul_f32_e32 v146, 0xbf68dda4, v107
	v_add_f32_e32 v49, v51, v49
	v_add_f32_e32 v42, v48, v42
	;; [unrolled: 1-line block ×4, first 2 shown]
	v_fmac_f32_e32 v161, 0xbf68dda4, v108
	v_add_f32_e32 v45, v45, v49
	v_add_f32_e32 v42, v50, v42
	;; [unrolled: 1-line block ×8, first 2 shown]
	v_fma_f32 v49, 0x3ed4b147, v105, -v154
	v_add_f32_e32 v42, v50, v48
	v_fma_f32 v48, 0xbf27a4f4, v105, -v164
	v_add_f32_e32 v44, v46, v44
	v_add_f32_e32 v46, v168, v47
	v_mul_f32_e32 v148, 0xbf7d64f0, v110
	v_add_f32_e32 v122, v41, v122
	v_add_f32_e32 v47, v40, v48
	v_fma_f32 v48, 0xbe11bafb, v106, -v170
	v_sub_f32_e32 v120, v120, v146
	v_fmac_f32_e32 v167, 0xbe11bafb, v113
	v_add_f32_e32 v41, v41, v161
	v_fmac_f32_e32 v157, 0xbf4178ce, v107
	v_add_f32_e32 v47, v48, v47
	v_fma_f32 v48, 0x3f575c64, v109, -v172
	v_add_f32_e32 v40, v40, v49
	v_fma_f32 v49, 0xbf27a4f4, v106, -v156
	v_mul_f32_e32 v151, 0xbf4178ce, v112
	v_add_f32_e32 v120, v120, v122
	v_sub_f32_e32 v56, v121, v148
	v_fmac_f32_e32 v158, 0x3ed4b147, v109
	v_add_f32_e32 v139, v167, v139
	v_fmamk_f32 v167, v109, 0x3f575c64, v172
	v_add_f32_e32 v47, v48, v47
	v_fma_f32 v48, 0xbf75a155, v111, -v169
	v_add_f32_e32 v41, v157, v41
	v_fmac_f32_e32 v132, 0x3e903f40, v110
	v_add_f32_e32 v40, v49, v40
	v_fma_f32 v49, 0xbf75a155, v109, -v128
	v_mul_f32_e32 v155, 0xbe903f40, v114
	v_add_f32_e32 v53, v56, v120
	v_sub_f32_e32 v56, v123, v151
	v_add_f32_e32 v130, v158, v130
	v_fmac_f32_e32 v159, 0x3f575c64, v111
	v_add_f32_e32 v165, v167, v165
	v_fmamk_f32 v167, v111, 0xbf75a155, v169
	v_fmac_f32_e32 v166, 0xbe903f40, v112
	v_add_f32_e32 v47, v48, v47
	v_add_f32_e32 v41, v132, v41
	v_fmac_f32_e32 v133, 0x3f7d64f0, v112
	v_add_f32_e32 v40, v49, v40
	v_fma_f32 v48, 0xbe11bafb, v111, -v129
	v_add_f32_e32 v53, v56, v53
	v_sub_f32_e32 v55, v124, v155
	v_mov_b32_e32 v50, 3
	v_add_f32_e32 v130, v159, v130
	v_fmac_f32_e32 v160, 0xbf27a4f4, v113
	v_add_f32_e32 v165, v167, v165
	v_fmamk_f32 v167, v113, 0x3ed4b147, v173
	v_add_f32_e32 v46, v166, v46
	v_fmac_f32_e32 v171, 0x3f68dda4, v114
	v_fma_f32 v49, 0x3ed4b147, v113, -v173
	v_add_f32_e32 v51, v133, v41
	v_fmac_f32_e32 v134, 0x3f0a6770, v114
	v_add_f32_e32 v48, v48, v40
	v_fma_f32 v52, 0x3f575c64, v113, -v127
	v_add_f32_e32 v43, v55, v53
	v_add_f32_e32 v45, v84, v45
	;; [unrolled: 1-line block ×3, first 2 shown]
	v_lshlrev_b32_sdwa v50, v50, v90 dst_sel:DWORD dst_unused:UNUSED_PAD src0_sel:DWORD src1_sel:WORD_0
	v_add_f32_e32 v130, v160, v130
	v_add_f32_e32 v141, v167, v165
	;; [unrolled: 1-line block ×6, first 2 shown]
	ds_write2_b64 v50, v[44:45], v[42:43] offset1:1
	ds_write2_b64 v50, v[125:126], v[130:131] offset0:2 offset1:3
	ds_write2_b64 v50, v[141:142], v[139:140] offset0:4 offset1:5
	;; [unrolled: 1-line block ×4, first 2 shown]
	ds_write_b64 v50, v[85:86] offset:80
.LBB0_21:
	s_or_b32 exec_lo, exec_lo, s1
	v_add_nc_u32_e32 v40, 0x1800, v89
	v_add_nc_u32_e32 v44, 0x2400, v89
	;; [unrolled: 1-line block ×3, first 2 shown]
	s_waitcnt lgkmcnt(0)
	s_barrier
	buffer_gl0_inv
	ds_read2_b64 v[40:43], v40 offset0:24 offset1:222
	ds_read2_b64 v[44:47], v44 offset0:36 offset1:234
	ds_read2_b64 v[48:51], v48 offset0:48 offset1:246
	v_add_nc_u32_e32 v56, 0xc00, v89
	ds_read2_b64 v[52:55], v89 offset1:198
	ds_read2_b64 v[56:59], v56 offset0:12 offset1:210
	s_waitcnt lgkmcnt(0)
	s_barrier
	buffer_gl0_inv
	v_mul_f32_e32 v84, v70, v45
	v_mul_f32_e32 v83, v68, v43
	;; [unrolled: 1-line block ×10, first 2 shown]
	v_fmac_f32_e32 v83, v67, v42
	v_fma_f32 v43, v67, v43, -v68
	v_fmac_f32_e32 v84, v69, v44
	v_fma_f32 v45, v69, v45, -v70
	;; [unrolled: 2-line block ×5, first 2 shown]
	v_sub_f32_e32 v42, v52, v83
	v_sub_f32_e32 v43, v53, v43
	;; [unrolled: 1-line block ×8, first 2 shown]
	v_fma_f32 v48, v52, 2.0, -v42
	v_fma_f32 v49, v53, 2.0, -v43
	v_sub_f32_e32 v52, v40, v106
	v_sub_f32_e32 v53, v41, v64
	v_fma_f32 v50, v54, 2.0, -v44
	v_fma_f32 v51, v55, 2.0, -v45
	;; [unrolled: 1-line block ×8, first 2 shown]
	ds_write2_b64 v97, v[48:49], v[42:43] offset1:11
	ds_write2_b64 v96, v[50:51], v[44:45] offset1:11
	;; [unrolled: 1-line block ×5, first 2 shown]
	v_add_nc_u32_e32 v44, 0x1400, v89
	v_add_nc_u32_e32 v45, 0x2800, v89
	s_waitcnt lgkmcnt(0)
	s_barrier
	buffer_gl0_inv
	ds_read2_b64 v[40:43], v89 offset1:198
	ds_read2_b64 v[48:51], v44 offset0:20 offset1:218
	ds_read2_b64 v[44:47], v45 offset0:40 offset1:238
	ds_read_b64 v[54:55], v89 offset:3168
	ds_read_b64 v[58:59], v89 offset:8448
	;; [unrolled: 1-line block ×3, first 2 shown]
	s_and_saveexec_b32 s1, s0
	s_cbranch_execz .LBB0_23
; %bb.22:
	ds_read_b64 v[52:53], v89 offset:4752
	ds_read_b64 v[85:86], v89 offset:10032
	;; [unrolled: 1-line block ×3, first 2 shown]
.LBB0_23:
	s_or_b32 exec_lo, exec_lo, s1
	s_waitcnt lgkmcnt(3)
	v_mul_f32_e32 v62, v19, v45
	v_mul_f32_e32 v19, v19, v44
	;; [unrolled: 1-line block ×4, first 2 shown]
	s_waitcnt lgkmcnt(0)
	v_fmac_f32_e32 v62, v18, v44
	v_fma_f32 v18, v18, v45, -v19
	v_mul_f32_e32 v19, v15, v47
	v_fmac_f32_e32 v61, v16, v48
	v_fma_f32 v16, v16, v49, -v17
	v_mul_f32_e32 v17, v13, v51
	v_mul_f32_e32 v13, v13, v50
	;; [unrolled: 1-line block ×3, first 2 shown]
	v_fmac_f32_e32 v19, v14, v46
	v_mul_f32_e32 v46, v1, v86
	v_mul_f32_e32 v1, v1, v85
	;; [unrolled: 1-line block ×4, first 2 shown]
	v_fmac_f32_e32 v17, v12, v50
	v_fma_f32 v12, v12, v51, -v13
	v_mul_f32_e32 v44, v9, v59
	v_mul_f32_e32 v9, v9, v58
	v_fma_f32 v13, v14, v47, -v15
	v_mul_f32_e32 v15, v11, v57
	v_mul_f32_e32 v11, v11, v56
	v_fmac_f32_e32 v46, v0, v85
	v_fma_f32 v49, v0, v86, -v1
	v_add_f32_e32 v0, v61, v62
	v_add_f32_e32 v1, v40, v61
	v_fma_f32 v50, v2, v82, -v3
	v_add_f32_e32 v3, v16, v18
	v_fma_f32 v45, v8, v59, -v9
	v_fmac_f32_e32 v15, v10, v56
	v_fma_f32 v47, v10, v57, -v11
	v_fmac_f32_e32 v48, v2, v81
	v_fma_f32 v0, -0.5, v0, v40
	v_sub_f32_e32 v9, v16, v18
	v_add_f32_e32 v2, v1, v62
	v_add_f32_e32 v10, v41, v16
	v_fma_f32 v1, -0.5, v3, v41
	v_sub_f32_e32 v11, v61, v62
	v_fmac_f32_e32 v44, v8, v58
	v_fmamk_f32 v8, v9, 0xbf5db3d7, v0
	v_fmac_f32_e32 v0, 0x3f5db3d7, v9
	v_add_f32_e32 v3, v10, v18
	v_add_f32_e32 v10, v17, v19
	v_fmamk_f32 v9, v11, 0x3f5db3d7, v1
	v_add_f32_e32 v14, v42, v17
	v_fmac_f32_e32 v1, 0xbf5db3d7, v11
	v_add_f32_e32 v11, v12, v13
	v_fma_f32 v42, -0.5, v10, v42
	v_sub_f32_e32 v16, v12, v13
	v_add_f32_e32 v10, v14, v19
	v_add_f32_e32 v14, v43, v12
	v_fmac_f32_e32 v43, -0.5, v11
	v_sub_f32_e32 v17, v17, v19
	v_fmamk_f32 v12, v16, 0xbf5db3d7, v42
	v_fmac_f32_e32 v42, 0x3f5db3d7, v16
	v_add_f32_e32 v11, v14, v13
	v_add_f32_e32 v14, v44, v15
	v_fmamk_f32 v13, v17, 0x3f5db3d7, v43
	v_add_f32_e32 v16, v54, v44
	v_fmac_f32_e32 v43, 0xbf5db3d7, v17
	v_add_f32_e32 v17, v45, v47
	v_fma_f32 v54, -0.5, v14, v54
	v_sub_f32_e32 v18, v45, v47
	v_add_f32_e32 v14, v16, v15
	v_add_f32_e32 v16, v55, v45
	v_fmac_f32_e32 v55, -0.5, v17
	v_sub_f32_e32 v17, v44, v15
	v_fmamk_f32 v40, v18, 0xbf5db3d7, v54
	v_fmac_f32_e32 v54, 0x3f5db3d7, v18
	v_add_f32_e32 v15, v16, v47
	v_add_f32_e32 v16, v46, v48
	v_fmamk_f32 v41, v17, 0x3f5db3d7, v55
	v_fmac_f32_e32 v55, 0xbf5db3d7, v17
	v_add_f32_e32 v17, v49, v50
	v_add_f32_e32 v18, v52, v46
	v_fmac_f32_e32 v52, -0.5, v16
	v_sub_f32_e32 v19, v49, v50
	v_add_f32_e32 v44, v53, v49
	v_fmac_f32_e32 v53, -0.5, v17
	v_sub_f32_e32 v45, v46, v48
	v_add_f32_e32 v16, v18, v48
	v_fmamk_f32 v18, v19, 0xbf5db3d7, v52
	v_fmac_f32_e32 v52, 0x3f5db3d7, v19
	v_add_f32_e32 v17, v44, v50
	v_fmamk_f32 v19, v45, 0x3f5db3d7, v53
	v_fmac_f32_e32 v53, 0xbf5db3d7, v45
	s_barrier
	buffer_gl0_inv
	ds_write2_b64 v101, v[2:3], v[8:9] offset1:22
	ds_write_b64 v101, v[0:1] offset:352
	ds_write2_b64 v100, v[10:11], v[12:13] offset1:22
	ds_write_b64 v100, v[42:43] offset:352
	;; [unrolled: 2-line block ×3, first 2 shown]
	s_and_saveexec_b32 s1, s0
	s_cbranch_execz .LBB0_25
; %bb.24:
	v_mad_u16 v0, 0x42, v91, v92
	v_mov_b32_e32 v1, 3
	v_lshlrev_b32_sdwa v0, v1, v0 dst_sel:DWORD dst_unused:UNUSED_PAD src0_sel:DWORD src1_sel:WORD_0
	ds_write2_b64 v0, v[16:17], v[18:19] offset1:22
	ds_write_b64 v0, v[52:53] offset:352
.LBB0_25:
	s_or_b32 exec_lo, exec_lo, s1
	v_add_nc_u32_e32 v8, 0x1400, v89
	v_add_nc_u32_e32 v9, 0x2800, v89
	s_waitcnt lgkmcnt(0)
	s_barrier
	buffer_gl0_inv
	ds_read2_b64 v[0:3], v89 offset1:198
	ds_read2_b64 v[12:15], v8 offset0:20 offset1:218
	ds_read2_b64 v[8:11], v9 offset0:40 offset1:238
	ds_read_b64 v[40:41], v89 offset:3168
	ds_read_b64 v[44:45], v89 offset:8448
	;; [unrolled: 1-line block ×3, first 2 shown]
	s_and_saveexec_b32 s1, s0
	s_cbranch_execz .LBB0_27
; %bb.26:
	ds_read_b64 v[16:17], v89 offset:4752
	ds_read_b64 v[18:19], v89 offset:10032
	;; [unrolled: 1-line block ×3, first 2 shown]
.LBB0_27:
	s_or_b32 exec_lo, exec_lo, s1
	s_waitcnt lgkmcnt(4)
	v_mul_f32_e32 v46, v33, v13
	v_mul_f32_e32 v33, v33, v12
	s_waitcnt lgkmcnt(3)
	v_mul_f32_e32 v47, v35, v9
	v_mul_f32_e32 v35, v35, v8
	s_waitcnt lgkmcnt(0)
	v_fmac_f32_e32 v46, v32, v12
	v_fma_f32 v12, v32, v13, -v33
	v_mul_f32_e32 v13, v29, v15
	v_fmac_f32_e32 v47, v34, v8
	v_mul_f32_e32 v8, v29, v14
	v_mul_f32_e32 v29, v31, v11
	v_fma_f32 v9, v34, v9, -v35
	v_fmac_f32_e32 v13, v28, v14
	v_mul_f32_e32 v14, v31, v10
	v_fma_f32 v15, v28, v15, -v8
	v_mul_f32_e32 v28, v25, v45
	v_fmac_f32_e32 v29, v30, v10
	v_mul_f32_e32 v8, v25, v44
	v_mul_f32_e32 v10, v27, v42
	v_fma_f32 v25, v30, v11, -v14
	v_mul_f32_e32 v30, v27, v43
	v_fmac_f32_e32 v28, v24, v44
	v_fma_f32 v24, v24, v45, -v8
	v_add_f32_e32 v8, v46, v47
	v_add_f32_e32 v11, v0, v46
	v_fma_f32 v27, v26, v43, -v10
	v_add_f32_e32 v10, v12, v9
	v_fmac_f32_e32 v30, v26, v42
	v_fma_f32 v0, -0.5, v8, v0
	v_sub_f32_e32 v14, v12, v9
	v_add_f32_e32 v8, v11, v47
	v_add_f32_e32 v11, v1, v12
	v_fma_f32 v1, -0.5, v10, v1
	v_sub_f32_e32 v12, v46, v47
	v_add_f32_e32 v26, v2, v13
	v_add_f32_e32 v31, v15, v25
	;; [unrolled: 1-line block ×3, first 2 shown]
	v_sub_f32_e32 v32, v15, v25
	v_fmamk_f32 v11, v12, 0x3f5db3d7, v1
	v_fmac_f32_e32 v1, 0xbf5db3d7, v12
	v_add_f32_e32 v12, v26, v29
	v_add_f32_e32 v15, v3, v15
	v_fmac_f32_e32 v3, -0.5, v31
	v_sub_f32_e32 v26, v13, v29
	v_fmamk_f32 v10, v14, 0xbf5db3d7, v0
	v_fmac_f32_e32 v0, 0x3f5db3d7, v14
	v_add_f32_e32 v14, v13, v29
	v_add_f32_e32 v13, v15, v25
	;; [unrolled: 1-line block ×3, first 2 shown]
	v_fmamk_f32 v15, v26, 0x3f5db3d7, v3
	v_fmac_f32_e32 v3, 0xbf5db3d7, v26
	v_add_f32_e32 v26, v24, v27
	v_fma_f32 v2, -0.5, v14, v2
	v_add_f32_e32 v29, v40, v28
	v_fma_f32 v40, -0.5, v25, v40
	v_sub_f32_e32 v25, v24, v27
	v_add_f32_e32 v31, v41, v24
	v_fmac_f32_e32 v41, -0.5, v26
	v_sub_f32_e32 v28, v28, v30
	v_fmamk_f32 v14, v32, 0xbf5db3d7, v2
	v_fmac_f32_e32 v2, 0x3f5db3d7, v32
	v_add_f32_e32 v24, v29, v30
	v_fmamk_f32 v26, v25, 0xbf5db3d7, v40
	v_fmac_f32_e32 v40, 0x3f5db3d7, v25
	v_add_f32_e32 v25, v31, v27
	v_fmamk_f32 v27, v28, 0x3f5db3d7, v41
	v_fmac_f32_e32 v41, 0xbf5db3d7, v28
	s_barrier
	buffer_gl0_inv
	ds_write2_b64 v104, v[8:9], v[10:11] offset1:66
	ds_write_b64 v104, v[0:1] offset:1056
	ds_write2_b64 v103, v[12:13], v[14:15] offset1:66
	ds_write_b64 v103, v[2:3] offset:1056
	;; [unrolled: 2-line block ×3, first 2 shown]
	s_and_saveexec_b32 s1, s0
	s_cbranch_execz .LBB0_29
; %bb.28:
	v_mul_f32_e32 v0, v5, v18
	v_mul_f32_e32 v1, v7, v52
	;; [unrolled: 1-line block ×4, first 2 shown]
	v_fma_f32 v0, v4, v19, -v0
	v_fma_f32 v3, v6, v53, -v1
	v_fmac_f32_e32 v2, v4, v18
	v_fmac_f32_e32 v7, v6, v52
	v_mov_b32_e32 v1, 3
	v_add_f32_e32 v9, v17, v0
	v_add_f32_e32 v4, v0, v3
	v_sub_f32_e32 v10, v0, v3
	v_add_f32_e32 v5, v2, v7
	v_lshlrev_b32_sdwa v6, v1, v98 dst_sel:DWORD dst_unused:UNUSED_PAD src0_sel:DWORD src1_sel:WORD_0
	v_sub_f32_e32 v8, v2, v7
	v_fma_f32 v1, -0.5, v4, v17
	v_add_f32_e32 v2, v16, v2
	v_fma_f32 v0, -0.5, v5, v16
	v_add_f32_e32 v3, v9, v3
	v_fmamk_f32 v5, v8, 0xbf5db3d7, v1
	v_fmac_f32_e32 v1, 0x3f5db3d7, v8
	v_fmamk_f32 v4, v10, 0x3f5db3d7, v0
	v_add_f32_e32 v2, v2, v7
	v_add_nc_u32_e32 v7, 0x3400, v6
	v_fmac_f32_e32 v0, 0xbf5db3d7, v10
	ds_write2_b64 v7, v[2:3], v[0:1] offset0:118 offset1:184
	ds_write_b64 v6, v[4:5] offset:15312
.LBB0_29:
	s_or_b32 exec_lo, exec_lo, s1
	v_add_nc_u32_e32 v24, 0xc00, v89
	v_add_nc_u32_e32 v25, 0x1800, v89
	;; [unrolled: 1-line block ×4, first 2 shown]
	s_waitcnt lgkmcnt(0)
	s_barrier
	buffer_gl0_inv
	ds_read2_b64 v[0:3], v24 offset0:12 offset1:210
	ds_read2_b64 v[4:7], v25 offset0:24 offset1:222
	;; [unrolled: 1-line block ×4, first 2 shown]
	ds_read2_b64 v[16:19], v89 offset1:198
	s_waitcnt lgkmcnt(0)
	s_barrier
	buffer_gl0_inv
	v_mul_f32_e32 v30, v39, v5
	v_mul_f32_e32 v32, v21, v9
	;; [unrolled: 1-line block ×8, first 2 shown]
	v_fmac_f32_e32 v28, v36, v0
	v_fmac_f32_e32 v30, v38, v4
	;; [unrolled: 1-line block ×3, first 2 shown]
	v_mul_f32_e32 v31, v39, v4
	v_mul_f32_e32 v33, v21, v8
	;; [unrolled: 1-line block ×4, first 2 shown]
	v_fma_f32 v29, v36, v1, -v29
	v_fmac_f32_e32 v34, v22, v12
	v_fma_f32 v12, v22, v13, -v35
	v_fmac_f32_e32 v40, v36, v2
	v_fma_f32 v35, v36, v3, -v37
	v_add_f32_e32 v0, v30, v32
	v_mul_f32_e32 v37, v21, v11
	v_mul_f32_e32 v1, v21, v10
	v_add_f32_e32 v2, v16, v28
	v_fma_f32 v31, v38, v5, -v31
	v_fma_f32 v33, v20, v9, -v33
	v_fmac_f32_e32 v41, v38, v6
	v_fma_f32 v36, v38, v7, -v39
	v_fma_f32 v0, -0.5, v0, v16
	v_sub_f32_e32 v3, v29, v12
	v_fmac_f32_e32 v37, v20, v10
	v_fma_f32 v20, v20, v11, -v1
	v_add_f32_e32 v1, v2, v30
	v_sub_f32_e32 v4, v28, v30
	v_sub_f32_e32 v6, v34, v32
	v_add_f32_e32 v7, v28, v34
	v_fmamk_f32 v2, v3, 0xbf737871, v0
	v_sub_f32_e32 v5, v31, v33
	v_mul_f32_e32 v8, v23, v14
	v_add_f32_e32 v1, v1, v32
	v_add_f32_e32 v9, v4, v6
	v_fma_f32 v4, -0.5, v7, v16
	v_fmac_f32_e32 v0, 0x3f737871, v3
	v_add_f32_e32 v10, v17, v29
	v_mul_f32_e32 v13, v23, v15
	v_fmac_f32_e32 v2, 0xbf167918, v5
	v_fma_f32 v15, v22, v15, -v8
	v_add_f32_e32 v6, v1, v34
	v_fmamk_f32 v8, v5, 0x3f737871, v4
	v_sub_f32_e32 v1, v30, v28
	v_sub_f32_e32 v7, v32, v34
	v_fmac_f32_e32 v0, 0x3f167918, v5
	v_add_f32_e32 v11, v31, v33
	v_fmac_f32_e32 v4, 0xbf737871, v5
	v_add_f32_e32 v5, v10, v31
	v_fmac_f32_e32 v13, v22, v14
	v_fmac_f32_e32 v2, 0x3e9e377a, v9
	;; [unrolled: 1-line block ×3, first 2 shown]
	v_add_f32_e32 v7, v1, v7
	v_fma_f32 v1, -0.5, v11, v17
	v_sub_f32_e32 v11, v28, v34
	v_fmac_f32_e32 v0, 0x3e9e377a, v9
	v_fmac_f32_e32 v4, 0x3f167918, v3
	v_add_f32_e32 v9, v5, v33
	v_add_f32_e32 v5, v29, v12
	v_sub_f32_e32 v14, v29, v31
	v_sub_f32_e32 v16, v12, v33
	v_fmac_f32_e32 v8, 0x3e9e377a, v7
	v_fmamk_f32 v3, v11, 0x3f737871, v1
	v_sub_f32_e32 v10, v30, v32
	v_fmac_f32_e32 v4, 0x3e9e377a, v7
	v_fma_f32 v5, -0.5, v5, v17
	v_add_f32_e32 v7, v9, v12
	v_add_f32_e32 v14, v14, v16
	v_fmac_f32_e32 v1, 0xbf737871, v11
	v_sub_f32_e32 v16, v31, v29
	v_sub_f32_e32 v12, v33, v12
	v_add_f32_e32 v17, v41, v37
	v_fmac_f32_e32 v3, 0x3f167918, v10
	v_fmamk_f32 v9, v10, 0xbf737871, v5
	v_fmac_f32_e32 v1, 0xbf167918, v10
	v_add_f32_e32 v16, v16, v12
	v_fmac_f32_e32 v5, 0x3f737871, v10
	v_add_f32_e32 v12, v18, v40
	v_fma_f32 v10, -0.5, v17, v18
	v_sub_f32_e32 v17, v35, v15
	v_add_f32_e32 v23, v40, v13
	v_fmac_f32_e32 v3, 0x3e9e377a, v14
	v_fmac_f32_e32 v9, 0x3f167918, v11
	;; [unrolled: 1-line block ×4, first 2 shown]
	v_add_f32_e32 v11, v12, v41
	v_fmamk_f32 v12, v17, 0xbf737871, v10
	v_sub_f32_e32 v21, v36, v20
	v_sub_f32_e32 v14, v40, v41
	;; [unrolled: 1-line block ×3, first 2 shown]
	v_fmac_f32_e32 v10, 0x3f737871, v17
	v_fma_f32 v18, -0.5, v23, v18
	v_fmac_f32_e32 v9, 0x3e9e377a, v16
	v_add_f32_e32 v11, v11, v37
	v_fmac_f32_e32 v12, 0xbf167918, v21
	v_add_f32_e32 v22, v14, v22
	v_fmac_f32_e32 v10, 0x3f167918, v21
	v_fmac_f32_e32 v5, 0x3e9e377a, v16
	v_fmamk_f32 v16, v21, 0x3f737871, v18
	v_fmac_f32_e32 v18, 0xbf737871, v21
	v_add_f32_e32 v21, v19, v35
	v_add_f32_e32 v14, v11, v13
	v_fmac_f32_e32 v12, 0x3e9e377a, v22
	v_fmac_f32_e32 v10, 0x3e9e377a, v22
	v_add_f32_e32 v11, v36, v20
	v_sub_f32_e32 v22, v41, v40
	v_sub_f32_e32 v23, v37, v13
	v_fmac_f32_e32 v16, 0xbf167918, v17
	v_fmac_f32_e32 v18, 0x3f167918, v17
	v_add_f32_e32 v17, v21, v36
	v_add_f32_e32 v21, v35, v15
	v_fma_f32 v11, -0.5, v11, v19
	v_sub_f32_e32 v28, v40, v13
	v_add_f32_e32 v22, v22, v23
	v_sub_f32_e32 v23, v41, v37
	v_fmac_f32_e32 v19, -0.5, v21
	v_sub_f32_e32 v21, v35, v36
	v_fmamk_f32 v13, v28, 0x3f737871, v11
	v_fmac_f32_e32 v16, 0x3e9e377a, v22
	v_fmac_f32_e32 v18, 0x3e9e377a, v22
	v_add_f32_e32 v22, v17, v20
	v_sub_f32_e32 v29, v15, v20
	v_fmamk_f32 v17, v23, 0xbf737871, v19
	v_sub_f32_e32 v30, v36, v35
	v_sub_f32_e32 v20, v20, v15
	v_fmac_f32_e32 v11, 0xbf737871, v28
	v_fmac_f32_e32 v19, 0x3f737871, v23
	;; [unrolled: 1-line block ×3, first 2 shown]
	v_add_f32_e32 v21, v21, v29
	v_fmac_f32_e32 v17, 0x3f167918, v28
	v_add_f32_e32 v20, v30, v20
	v_fmac_f32_e32 v11, 0xbf167918, v23
	v_fmac_f32_e32 v19, 0xbf167918, v28
	v_add_f32_e32 v15, v22, v15
	v_fmac_f32_e32 v13, 0x3e9e377a, v21
	v_fmac_f32_e32 v17, 0x3e9e377a, v20
	;; [unrolled: 1-line block ×4, first 2 shown]
	ds_write2_b64 v89, v[6:7], v[2:3] offset1:198
	ds_write2_b64 v24, v[8:9], v[4:5] offset0:12 offset1:210
	ds_write2_b64 v25, v[0:1], v[14:15] offset0:24 offset1:222
	;; [unrolled: 1-line block ×4, first 2 shown]
	s_waitcnt lgkmcnt(0)
	s_barrier
	buffer_gl0_inv
	ds_read2_b64 v[0:3], v25 offset0:24 offset1:222
	ds_read2_b64 v[4:7], v26 offset0:36 offset1:234
	;; [unrolled: 1-line block ×3, first 2 shown]
	ds_read2_b64 v[12:15], v89 offset1:198
	ds_read2_b64 v[16:19], v24 offset0:12 offset1:210
	s_waitcnt lgkmcnt(4)
	v_mul_f32_e32 v20, v78, v3
	v_mul_f32_e32 v21, v78, v2
	s_waitcnt lgkmcnt(3)
	v_mul_f32_e32 v22, v80, v5
	v_mul_f32_e32 v23, v80, v4
	;; [unrolled: 1-line block ×3, first 2 shown]
	v_fmac_f32_e32 v20, v77, v2
	v_fma_f32 v3, v77, v3, -v21
	v_fmac_f32_e32 v22, v79, v4
	v_fma_f32 v5, v79, v5, -v23
	v_mul_f32_e32 v2, v74, v6
	s_waitcnt lgkmcnt(2)
	v_mul_f32_e32 v21, v72, v9
	v_mul_f32_e32 v4, v72, v8
	v_fmac_f32_e32 v28, v73, v6
	v_mul_f32_e32 v23, v76, v11
	v_mul_f32_e32 v6, v76, v10
	v_fma_f32 v29, v73, v7, -v2
	v_fmac_f32_e32 v21, v71, v8
	v_fma_f32 v30, v71, v9, -v4
	s_waitcnt lgkmcnt(1)
	v_sub_f32_e32 v4, v14, v22
	v_sub_f32_e32 v5, v15, v5
	v_fmac_f32_e32 v23, v75, v10
	v_fma_f32 v31, v75, v11, -v6
	v_sub_f32_e32 v2, v12, v20
	v_sub_f32_e32 v3, v13, v3
	s_waitcnt lgkmcnt(0)
	v_sub_f32_e32 v8, v16, v28
	v_fma_f32 v10, v14, 2.0, -v4
	v_fma_f32 v11, v15, 2.0, -v5
	v_sub_f32_e32 v9, v17, v29
	v_sub_f32_e32 v14, v18, v21
	v_sub_f32_e32 v15, v19, v30
	v_sub_f32_e32 v20, v0, v23
	v_sub_f32_e32 v21, v1, v31
	v_fma_f32 v6, v12, 2.0, -v2
	v_fma_f32 v7, v13, 2.0, -v3
	;; [unrolled: 1-line block ×8, first 2 shown]
	ds_write2_b64 v89, v[6:7], v[10:11] offset1:198
	ds_write2_b64 v26, v[4:5], v[8:9] offset0:36 offset1:234
	ds_write2_b64 v24, v[12:13], v[16:17] offset0:12 offset1:210
	;; [unrolled: 1-line block ×4, first 2 shown]
	s_waitcnt lgkmcnt(0)
	s_barrier
	buffer_gl0_inv
	s_and_b32 exec_lo, exec_lo, vcc_lo
	s_cbranch_execz .LBB0_31
; %bb.30:
	v_add_co_u32 v8, s0, s14, v87
	v_add_co_ci_u32_e64 v9, null, s15, 0, s0
	s_clause 0x1
	global_load_dwordx2 v[20:21], v87, s[14:15]
	global_load_dwordx2 v[22:23], v87, s[14:15] offset:1440
	v_add_co_u32 v0, vcc_lo, 0x800, v8
	v_add_co_ci_u32_e32 v1, vcc_lo, 0, v9, vcc_lo
	v_add_co_u32 v2, vcc_lo, 0x1000, v8
	v_add_co_ci_u32_e32 v3, vcc_lo, 0, v9, vcc_lo
	;; [unrolled: 2-line block ×4, first 2 shown]
	s_clause 0x5
	global_load_dwordx2 v[24:25], v[0:1], off offset:832
	global_load_dwordx2 v[26:27], v[2:3], off offset:224
	;; [unrolled: 1-line block ×6, first 2 shown]
	v_add_co_u32 v0, vcc_lo, 0x2800, v8
	v_add_co_ci_u32_e32 v1, vcc_lo, 0, v9, vcc_lo
	v_add_co_u32 v2, vcc_lo, 0x3000, v8
	v_add_co_ci_u32_e32 v3, vcc_lo, 0, v9, vcc_lo
	;; [unrolled: 2-line block ×3, first 2 shown]
	s_clause 0x2
	global_load_dwordx2 v[36:37], v[0:1], off offset:1280
	global_load_dwordx2 v[38:39], v[2:3], off offset:672
	;; [unrolled: 1-line block ×3, first 2 shown]
	v_mad_u64_u32 v[0:1], null, s6, v60, 0
	v_mad_u64_u32 v[2:3], null, s4, v88, 0
	ds_read_b64 v[42:43], v89
	v_add_nc_u32_e32 v8, 0x1c00, v87
	v_add_nc_u32_e32 v12, 0x2600, v87
	;; [unrolled: 1-line block ×3, first 2 shown]
	s_mul_i32 s2, s5, 0x5a0
	s_mul_hi_u32 s3, s4, 0x5a0
	v_mad_u64_u32 v[4:5], null, s7, v60, v[1:2]
	ds_read2_b64 v[8:11], v8 offset0:4 offset1:184
	ds_read2_b64 v[12:15], v12 offset0:44 offset1:224
	;; [unrolled: 1-line block ×3, first 2 shown]
	s_mulk_i32 s4, 0x5a0
	s_mov_b32 s0, 0xb37565e2
	s_add_i32 s3, s3, s2
	v_mad_u64_u32 v[5:6], null, s5, v88, v[3:4]
	v_mov_b32_e32 v1, v4
	v_add_nc_u32_e32 v6, 0x400, v87
	v_add_nc_u32_e32 v4, 0x1000, v87
	s_mov_b32 s1, 0x3f408cab
	v_lshlrev_b64 v[0:1], 3, v[0:1]
	v_mov_b32_e32 v3, v5
	v_lshlrev_b64 v[2:3], 3, v[2:3]
	v_add_co_u32 v0, vcc_lo, s12, v0
	v_add_co_ci_u32_e32 v1, vcc_lo, s13, v1, vcc_lo
	v_add_co_u32 v44, vcc_lo, v0, v2
	v_add_co_ci_u32_e32 v45, vcc_lo, v1, v3, vcc_lo
	ds_read2_b64 v[0:3], v6 offset0:52 offset1:232
	ds_read2_b64 v[4:7], v4 offset0:28 offset1:208
	v_add_co_u32 v46, vcc_lo, v44, s4
	v_add_co_ci_u32_e32 v47, vcc_lo, s3, v45, vcc_lo
	v_add_co_u32 v48, vcc_lo, v46, s4
	v_add_co_ci_u32_e32 v49, vcc_lo, s3, v47, vcc_lo
	;; [unrolled: 2-line block ×6, first 2 shown]
	s_waitcnt vmcnt(10) lgkmcnt(5)
	v_mul_f32_e32 v58, v43, v21
	v_mul_f32_e32 v21, v42, v21
	s_waitcnt vmcnt(9) lgkmcnt(1)
	v_mul_f32_e32 v59, v1, v23
	v_mul_f32_e32 v23, v0, v23
	v_fmac_f32_e32 v58, v42, v20
	v_fma_f32 v42, v20, v43, -v21
	v_fmac_f32_e32 v59, v0, v22
	v_fma_f32 v60, v22, v1, -v23
	v_add_co_u32 v0, vcc_lo, v56, s4
	v_cvt_f64_f32_e32 v[20:21], v58
	v_cvt_f64_f32_e32 v[22:23], v42
	;; [unrolled: 1-line block ×4, first 2 shown]
	s_waitcnt vmcnt(8)
	v_mul_f32_e32 v60, v3, v25
	v_mul_f32_e32 v25, v2, v25
	s_waitcnt vmcnt(7) lgkmcnt(0)
	v_mul_f32_e32 v61, v5, v27
	v_mul_f32_e32 v27, v4, v27
	s_waitcnt vmcnt(6)
	v_mul_f32_e32 v62, v7, v29
	v_mul_f32_e32 v29, v6, v29
	s_waitcnt vmcnt(5)
	;; [unrolled: 3-line block ×4, first 2 shown]
	v_mul_f32_e32 v65, v13, v35
	v_mul_f32_e32 v35, v12, v35
	v_fmac_f32_e32 v60, v2, v24
	v_fma_f32 v24, v24, v3, -v25
	v_fmac_f32_e32 v61, v4, v26
	s_waitcnt vmcnt(2)
	v_mul_f32_e32 v66, v15, v37
	v_mul_f32_e32 v37, v14, v37
	v_fma_f32 v25, v26, v5, -v27
	s_waitcnt vmcnt(1)
	v_mul_f32_e32 v67, v17, v39
	v_mul_f32_e32 v39, v16, v39
	v_fmac_f32_e32 v62, v6, v28
	v_fma_f32 v26, v28, v7, -v29
	s_waitcnt vmcnt(0)
	v_mul_f32_e32 v68, v19, v41
	v_mul_f32_e32 v41, v18, v41
	v_fmac_f32_e32 v63, v8, v30
	v_fma_f32 v27, v30, v9, -v31
	v_fmac_f32_e32 v64, v10, v32
	v_fma_f32 v28, v32, v11, -v33
	;; [unrolled: 2-line block ×3, first 2 shown]
	v_cvt_f64_f32_e32 v[2:3], v60
	v_cvt_f64_f32_e32 v[4:5], v24
	v_fmac_f32_e32 v66, v14, v36
	v_fma_f32 v32, v36, v15, -v37
	v_cvt_f64_f32_e32 v[6:7], v61
	v_cvt_f64_f32_e32 v[8:9], v25
	v_fmac_f32_e32 v67, v16, v38
	v_fma_f32 v36, v38, v17, -v39
	;; [unrolled: 4-line block ×3, first 2 shown]
	v_cvt_f64_f32_e32 v[14:15], v63
	v_cvt_f64_f32_e32 v[16:17], v27
	;; [unrolled: 1-line block ×12, first 2 shown]
	v_mul_f64 v[20:21], v[20:21], s[0:1]
	v_mul_f64 v[22:23], v[22:23], s[0:1]
	;; [unrolled: 1-line block ×22, first 2 shown]
	v_cvt_f32_f64_e32 v20, v[20:21]
	v_cvt_f32_f64_e32 v21, v[22:23]
	;; [unrolled: 1-line block ×14, first 2 shown]
	v_add_co_ci_u32_e32 v1, vcc_lo, s3, v57, vcc_lo
	v_cvt_f32_f64_e32 v12, v[26:27]
	v_cvt_f32_f64_e32 v13, v[28:29]
	;; [unrolled: 1-line block ×8, first 2 shown]
	v_add_co_u32 v24, vcc_lo, v0, s4
	v_add_co_ci_u32_e32 v25, vcc_lo, s3, v1, vcc_lo
	v_add_co_u32 v26, vcc_lo, v24, s4
	v_add_co_ci_u32_e32 v27, vcc_lo, s3, v25, vcc_lo
	;; [unrolled: 2-line block ×3, first 2 shown]
	global_store_dwordx2 v[44:45], v[20:21], off
	global_store_dwordx2 v[46:47], v[22:23], off
	;; [unrolled: 1-line block ×11, first 2 shown]
.LBB0_31:
	s_endpgm
	.section	.rodata,"a",@progbits
	.p2align	6, 0x0
	.amdhsa_kernel bluestein_single_back_len1980_dim1_sp_op_CI_CI
		.amdhsa_group_segment_fixed_size 15840
		.amdhsa_private_segment_fixed_size 0
		.amdhsa_kernarg_size 104
		.amdhsa_user_sgpr_count 6
		.amdhsa_user_sgpr_private_segment_buffer 1
		.amdhsa_user_sgpr_dispatch_ptr 0
		.amdhsa_user_sgpr_queue_ptr 0
		.amdhsa_user_sgpr_kernarg_segment_ptr 1
		.amdhsa_user_sgpr_dispatch_id 0
		.amdhsa_user_sgpr_flat_scratch_init 0
		.amdhsa_user_sgpr_private_segment_size 0
		.amdhsa_wavefront_size32 1
		.amdhsa_uses_dynamic_stack 0
		.amdhsa_system_sgpr_private_segment_wavefront_offset 0
		.amdhsa_system_sgpr_workgroup_id_x 1
		.amdhsa_system_sgpr_workgroup_id_y 0
		.amdhsa_system_sgpr_workgroup_id_z 0
		.amdhsa_system_sgpr_workgroup_info 0
		.amdhsa_system_vgpr_workitem_id 0
		.amdhsa_next_free_vgpr 175
		.amdhsa_next_free_sgpr 16
		.amdhsa_reserve_vcc 1
		.amdhsa_reserve_flat_scratch 0
		.amdhsa_float_round_mode_32 0
		.amdhsa_float_round_mode_16_64 0
		.amdhsa_float_denorm_mode_32 3
		.amdhsa_float_denorm_mode_16_64 3
		.amdhsa_dx10_clamp 1
		.amdhsa_ieee_mode 1
		.amdhsa_fp16_overflow 0
		.amdhsa_workgroup_processor_mode 1
		.amdhsa_memory_ordered 1
		.amdhsa_forward_progress 0
		.amdhsa_shared_vgpr_count 0
		.amdhsa_exception_fp_ieee_invalid_op 0
		.amdhsa_exception_fp_denorm_src 0
		.amdhsa_exception_fp_ieee_div_zero 0
		.amdhsa_exception_fp_ieee_overflow 0
		.amdhsa_exception_fp_ieee_underflow 0
		.amdhsa_exception_fp_ieee_inexact 0
		.amdhsa_exception_int_div_zero 0
	.end_amdhsa_kernel
	.text
.Lfunc_end0:
	.size	bluestein_single_back_len1980_dim1_sp_op_CI_CI, .Lfunc_end0-bluestein_single_back_len1980_dim1_sp_op_CI_CI
                                        ; -- End function
	.section	.AMDGPU.csdata,"",@progbits
; Kernel info:
; codeLenInByte = 14912
; NumSgprs: 18
; NumVgprs: 175
; ScratchSize: 0
; MemoryBound: 0
; FloatMode: 240
; IeeeMode: 1
; LDSByteSize: 15840 bytes/workgroup (compile time only)
; SGPRBlocks: 2
; VGPRBlocks: 21
; NumSGPRsForWavesPerEU: 18
; NumVGPRsForWavesPerEU: 175
; Occupancy: 5
; WaveLimiterHint : 1
; COMPUTE_PGM_RSRC2:SCRATCH_EN: 0
; COMPUTE_PGM_RSRC2:USER_SGPR: 6
; COMPUTE_PGM_RSRC2:TRAP_HANDLER: 0
; COMPUTE_PGM_RSRC2:TGID_X_EN: 1
; COMPUTE_PGM_RSRC2:TGID_Y_EN: 0
; COMPUTE_PGM_RSRC2:TGID_Z_EN: 0
; COMPUTE_PGM_RSRC2:TIDIG_COMP_CNT: 0
	.text
	.p2alignl 6, 3214868480
	.fill 48, 4, 3214868480
	.type	__hip_cuid_9cba629d740b19a1,@object ; @__hip_cuid_9cba629d740b19a1
	.section	.bss,"aw",@nobits
	.globl	__hip_cuid_9cba629d740b19a1
__hip_cuid_9cba629d740b19a1:
	.byte	0                               ; 0x0
	.size	__hip_cuid_9cba629d740b19a1, 1

	.ident	"AMD clang version 19.0.0git (https://github.com/RadeonOpenCompute/llvm-project roc-6.4.0 25133 c7fe45cf4b819c5991fe208aaa96edf142730f1d)"
	.section	".note.GNU-stack","",@progbits
	.addrsig
	.addrsig_sym __hip_cuid_9cba629d740b19a1
	.amdgpu_metadata
---
amdhsa.kernels:
  - .args:
      - .actual_access:  read_only
        .address_space:  global
        .offset:         0
        .size:           8
        .value_kind:     global_buffer
      - .actual_access:  read_only
        .address_space:  global
        .offset:         8
        .size:           8
        .value_kind:     global_buffer
      - .actual_access:  read_only
        .address_space:  global
        .offset:         16
        .size:           8
        .value_kind:     global_buffer
      - .actual_access:  read_only
        .address_space:  global
        .offset:         24
        .size:           8
        .value_kind:     global_buffer
      - .actual_access:  read_only
        .address_space:  global
        .offset:         32
        .size:           8
        .value_kind:     global_buffer
      - .offset:         40
        .size:           8
        .value_kind:     by_value
      - .address_space:  global
        .offset:         48
        .size:           8
        .value_kind:     global_buffer
      - .address_space:  global
        .offset:         56
        .size:           8
        .value_kind:     global_buffer
      - .address_space:  global
        .offset:         64
        .size:           8
        .value_kind:     global_buffer
      - .address_space:  global
        .offset:         72
        .size:           8
        .value_kind:     global_buffer
      - .offset:         80
        .size:           4
        .value_kind:     by_value
      - .address_space:  global
        .offset:         88
        .size:           8
        .value_kind:     global_buffer
      - .address_space:  global
        .offset:         96
        .size:           8
        .value_kind:     global_buffer
    .group_segment_fixed_size: 15840
    .kernarg_segment_align: 8
    .kernarg_segment_size: 104
    .language:       OpenCL C
    .language_version:
      - 2
      - 0
    .max_flat_workgroup_size: 198
    .name:           bluestein_single_back_len1980_dim1_sp_op_CI_CI
    .private_segment_fixed_size: 0
    .sgpr_count:     18
    .sgpr_spill_count: 0
    .symbol:         bluestein_single_back_len1980_dim1_sp_op_CI_CI.kd
    .uniform_work_group_size: 1
    .uses_dynamic_stack: false
    .vgpr_count:     175
    .vgpr_spill_count: 0
    .wavefront_size: 32
    .workgroup_processor_mode: 1
amdhsa.target:   amdgcn-amd-amdhsa--gfx1030
amdhsa.version:
  - 1
  - 2
...

	.end_amdgpu_metadata
